;; amdgpu-corpus repo=ROCm/rocFFT kind=compiled arch=gfx1100 opt=O3
	.text
	.amdgcn_target "amdgcn-amd-amdhsa--gfx1100"
	.amdhsa_code_object_version 6
	.protected	fft_rtc_fwd_len289_factors_17_17_wgs_119_tpt_17_dp_ip_CI_sbcc_twdbase5_3step_dirReg_intrinsicReadWrite ; -- Begin function fft_rtc_fwd_len289_factors_17_17_wgs_119_tpt_17_dp_ip_CI_sbcc_twdbase5_3step_dirReg_intrinsicReadWrite
	.globl	fft_rtc_fwd_len289_factors_17_17_wgs_119_tpt_17_dp_ip_CI_sbcc_twdbase5_3step_dirReg_intrinsicReadWrite
	.p2align	8
	.type	fft_rtc_fwd_len289_factors_17_17_wgs_119_tpt_17_dp_ip_CI_sbcc_twdbase5_3step_dirReg_intrinsicReadWrite,@function
fft_rtc_fwd_len289_factors_17_17_wgs_119_tpt_17_dp_ip_CI_sbcc_twdbase5_3step_dirReg_intrinsicReadWrite: ; @fft_rtc_fwd_len289_factors_17_17_wgs_119_tpt_17_dp_ip_CI_sbcc_twdbase5_3step_dirReg_intrinsicReadWrite
; %bb.0:
	s_load_b256 s[4:11], s[0:1], 0x8
	s_mov_b32 s16, s15
	s_mov_b32 s2, exec_lo
	scratch_store_b32 off, v0, off offset:8 ; 4-byte Folded Spill
	v_cmpx_gt_u32_e32 0x60, v0
	s_cbranch_execz .LBB0_2
; %bb.1:
	scratch_load_b32 v0, off, off offset:8  ; 4-byte Folded Reload
	s_waitcnt vmcnt(0)
	v_lshlrev_b32_e32 v4, 4, v0
	s_waitcnt lgkmcnt(0)
	global_load_b128 v[0:3], v4, s[4:5]
	v_add3_u32 v4, 0, v4, 0x7e70
	s_waitcnt vmcnt(0)
	ds_store_2addr_b64 v4, v[0:1], v[2:3] offset1:1
.LBB0_2:
	s_or_b32 exec_lo, exec_lo, s2
	s_waitcnt lgkmcnt(0)
	s_load_b64 s[4:5], s[8:9], 0x8
	s_waitcnt lgkmcnt(0)
	s_add_u32 s2, s4, -1
	s_addc_u32 s3, s5, -1
	s_add_u32 s12, 0, 0x92481000
	s_addc_u32 s13, 0, 0x64
	s_mul_hi_u32 s15, s12, -7
	s_add_i32 s13, s13, 0x249248c0
	s_sub_i32 s15, s15, s12
	s_mul_i32 s18, s13, -7
	s_mul_i32 s14, s12, -7
	s_add_i32 s15, s15, s18
	s_mul_hi_u32 s17, s12, s14
	s_mul_i32 s20, s12, s15
	s_mul_hi_u32 s18, s12, s15
	s_mul_hi_u32 s19, s13, s14
	s_mul_i32 s14, s13, s14
	s_add_u32 s17, s17, s20
	s_addc_u32 s18, 0, s18
	s_mul_hi_u32 s21, s13, s15
	s_add_u32 s14, s17, s14
	s_mul_i32 s15, s13, s15
	s_addc_u32 s14, s18, s19
	s_addc_u32 s17, s21, 0
	s_add_u32 s14, s14, s15
	s_delay_alu instid0(SALU_CYCLE_1) | instskip(SKIP_3) | instid1(VALU_DEP_1)
	v_add_co_u32 v0, s12, s12, s14
	s_addc_u32 s14, 0, s17
	s_cmp_lg_u32 s12, 0
	s_addc_u32 s12, s13, s14
	v_readfirstlane_b32 s13, v0
	s_mul_i32 s15, s2, s12
	s_mul_hi_u32 s14, s2, s12
	s_mul_hi_u32 s17, s3, s12
	s_mul_i32 s12, s3, s12
	s_mul_hi_u32 s18, s2, s13
	s_mul_hi_u32 s19, s3, s13
	s_mul_i32 s13, s3, s13
	s_add_u32 s15, s18, s15
	s_addc_u32 s14, 0, s14
	s_add_u32 s13, s15, s13
	s_addc_u32 s13, s14, s19
	s_addc_u32 s14, s17, 0
	s_add_u32 s12, s13, s12
	s_addc_u32 s13, 0, s14
	s_mul_i32 s15, s12, 7
	s_add_u32 s14, s12, 1
	v_sub_co_u32 v0, s2, s2, s15
	s_mul_hi_u32 s15, s12, 7
	s_addc_u32 s17, s13, 0
	s_mul_i32 s18, s13, 7
	s_delay_alu instid0(VALU_DEP_1)
	v_sub_co_u32 v1, s19, v0, 7
	s_add_u32 s20, s12, 2
	s_addc_u32 s21, s13, 0
	s_add_i32 s15, s15, s18
	s_cmp_lg_u32 s2, 0
	v_readfirstlane_b32 s2, v1
	s_subb_u32 s3, s3, s15
	s_cmp_lg_u32 s19, 0
	s_subb_u32 s15, s3, 0
	s_delay_alu instid0(VALU_DEP_1) | instskip(SKIP_4) | instid1(SALU_CYCLE_1)
	s_cmp_gt_u32 s2, 6
	s_cselect_b32 s2, -1, 0
	s_cmp_eq_u32 s15, 0
	v_readfirstlane_b32 s15, v0
	s_cselect_b32 s2, s2, -1
	s_cmp_lg_u32 s2, 0
	s_cselect_b32 s2, s20, s14
	s_cselect_b32 s14, s21, s17
	s_cmp_gt_u32 s15, 6
	s_mov_b32 s17, 0
	s_cselect_b32 s15, -1, 0
	s_cmp_eq_u32 s3, 0
	s_mov_b64 s[20:21], 0
	s_cselect_b32 s3, s15, -1
	s_delay_alu instid0(SALU_CYCLE_1) | instskip(SKIP_4) | instid1(SALU_CYCLE_1)
	s_cmp_lg_u32 s3, 0
	s_cselect_b32 s2, s2, s12
	s_cselect_b32 s3, s14, s13
	s_add_u32 s18, s2, 1
	s_addc_u32 s19, s3, 0
	v_cmp_lt_u64_e64 s2, s[16:17], s[18:19]
	s_delay_alu instid0(VALU_DEP_1)
	s_and_b32 vcc_lo, exec_lo, s2
	s_cbranch_vccnz .LBB0_4
; %bb.3:
	v_cvt_f32_u32_e32 v0, s18
	s_sub_i32 s3, 0, s18
	s_mov_b32 s21, s17
	s_delay_alu instid0(VALU_DEP_1) | instskip(SKIP_2) | instid1(VALU_DEP_1)
	v_rcp_iflag_f32_e32 v0, v0
	s_waitcnt_depctr 0xfff
	v_mul_f32_e32 v0, 0x4f7ffffe, v0
	v_cvt_u32_f32_e32 v0, v0
	s_delay_alu instid0(VALU_DEP_1) | instskip(NEXT) | instid1(VALU_DEP_1)
	v_readfirstlane_b32 s2, v0
	s_mul_i32 s3, s3, s2
	s_delay_alu instid0(SALU_CYCLE_1) | instskip(NEXT) | instid1(SALU_CYCLE_1)
	s_mul_hi_u32 s3, s2, s3
	s_add_i32 s2, s2, s3
	s_delay_alu instid0(SALU_CYCLE_1) | instskip(NEXT) | instid1(SALU_CYCLE_1)
	s_mul_hi_u32 s2, s16, s2
	s_mul_i32 s3, s2, s18
	s_add_i32 s12, s2, 1
	s_sub_i32 s3, s16, s3
	s_delay_alu instid0(SALU_CYCLE_1)
	s_sub_i32 s13, s3, s18
	s_cmp_ge_u32 s3, s18
	s_cselect_b32 s2, s12, s2
	s_cselect_b32 s3, s13, s3
	s_add_i32 s12, s2, 1
	s_cmp_ge_u32 s3, s18
	s_cselect_b32 s20, s12, s2
.LBB0_4:
	s_load_b128 s[12:15], s[10:11], 0x0
	s_clause 0x1
	s_load_b64 s[2:3], s[0:1], 0x58
	s_load_b64 s[0:1], s[0:1], 0x0
	s_waitcnt lgkmcnt(0)
	s_mul_i32 s13, s20, s19
	s_mul_hi_u32 s22, s20, s18
	s_mul_i32 s23, s20, s18
	s_add_i32 s22, s22, s13
	s_sub_u32 s34, s16, s23
	s_subb_u32 s13, 0, s22
	s_mul_hi_u32 s33, s34, 7
	s_mul_i32 s13, s13, 7
	v_cmp_lt_u64_e64 s24, s[6:7], 3
	s_mul_i32 s34, s34, 7
	s_add_i32 s33, s33, s13
	s_delay_alu instid0(VALU_DEP_1)
	s_and_b32 vcc_lo, exec_lo, s24
	s_mul_i32 s13, s14, s33
	s_mul_hi_u32 s22, s14, s34
	s_mul_i32 s23, s15, s34
	s_add_i32 s22, s22, s13
	s_mul_i32 s13, s14, s34
	s_add_i32 s35, s22, s23
	s_cbranch_vccnz .LBB0_14
; %bb.5:
	s_add_u32 s22, s10, 16
	s_addc_u32 s23, s11, 0
	s_add_u32 s8, s8, 16
	s_addc_u32 s9, s9, 0
	s_mov_b64 s[24:25], 2
	s_mov_b32 s26, 0
.LBB0_6:                                ; =>This Inner Loop Header: Depth=1
	s_load_b64 s[28:29], s[8:9], 0x0
	s_waitcnt lgkmcnt(0)
	s_or_b64 s[30:31], s[20:21], s[28:29]
	s_delay_alu instid0(SALU_CYCLE_1) | instskip(NEXT) | instid1(SALU_CYCLE_1)
	s_mov_b32 s27, s31
                                        ; implicit-def: $sgpr30_sgpr31
	s_cmp_lg_u64 s[26:27], 0
	s_mov_b32 s27, -1
	s_cbranch_scc0 .LBB0_8
; %bb.7:                                ;   in Loop: Header=BB0_6 Depth=1
	v_cvt_f32_u32_e32 v0, s28
	v_cvt_f32_u32_e32 v1, s29
	s_sub_u32 s31, 0, s28
	s_subb_u32 s36, 0, s29
	s_delay_alu instid0(VALU_DEP_1) | instskip(NEXT) | instid1(VALU_DEP_1)
	v_fmac_f32_e32 v0, 0x4f800000, v1
	v_rcp_f32_e32 v0, v0
	s_waitcnt_depctr 0xfff
	v_mul_f32_e32 v0, 0x5f7ffffc, v0
	s_delay_alu instid0(VALU_DEP_1) | instskip(NEXT) | instid1(VALU_DEP_1)
	v_mul_f32_e32 v1, 0x2f800000, v0
	v_trunc_f32_e32 v1, v1
	s_delay_alu instid0(VALU_DEP_1) | instskip(SKIP_1) | instid1(VALU_DEP_2)
	v_fmac_f32_e32 v0, 0xcf800000, v1
	v_cvt_u32_f32_e32 v1, v1
	v_cvt_u32_f32_e32 v0, v0
	s_delay_alu instid0(VALU_DEP_2) | instskip(NEXT) | instid1(VALU_DEP_2)
	v_readfirstlane_b32 s27, v1
	v_readfirstlane_b32 s30, v0
	s_delay_alu instid0(VALU_DEP_2) | instskip(NEXT) | instid1(VALU_DEP_1)
	s_mul_i32 s37, s31, s27
	s_mul_hi_u32 s39, s31, s30
	s_mul_i32 s38, s36, s30
	s_add_i32 s37, s39, s37
	s_mul_i32 s40, s31, s30
	s_add_i32 s37, s37, s38
	s_mul_hi_u32 s39, s30, s40
	s_mul_hi_u32 s41, s27, s40
	s_mul_i32 s38, s27, s40
	s_mul_hi_u32 s40, s30, s37
	s_mul_i32 s30, s30, s37
	s_mul_hi_u32 s42, s27, s37
	s_add_u32 s30, s39, s30
	s_addc_u32 s39, 0, s40
	s_add_u32 s30, s30, s38
	s_mul_i32 s37, s27, s37
	s_addc_u32 s30, s39, s41
	s_addc_u32 s38, s42, 0
	s_add_u32 s30, s30, s37
	s_addc_u32 s37, 0, s38
	v_add_co_u32 v0, s30, v0, s30
	s_delay_alu instid0(VALU_DEP_1) | instskip(SKIP_1) | instid1(VALU_DEP_1)
	s_cmp_lg_u32 s30, 0
	s_addc_u32 s27, s27, s37
	v_readfirstlane_b32 s30, v0
	s_mul_i32 s37, s31, s27
	s_delay_alu instid0(VALU_DEP_1)
	s_mul_hi_u32 s38, s31, s30
	s_mul_i32 s36, s36, s30
	s_add_i32 s37, s38, s37
	s_mul_i32 s31, s31, s30
	s_add_i32 s37, s37, s36
	s_mul_hi_u32 s38, s27, s31
	s_mul_i32 s39, s27, s31
	s_mul_hi_u32 s31, s30, s31
	s_mul_hi_u32 s40, s30, s37
	s_mul_i32 s30, s30, s37
	s_mul_hi_u32 s36, s27, s37
	s_add_u32 s30, s31, s30
	s_addc_u32 s31, 0, s40
	s_add_u32 s30, s30, s39
	s_mul_i32 s37, s27, s37
	s_addc_u32 s30, s31, s38
	s_addc_u32 s31, s36, 0
	s_add_u32 s30, s30, s37
	s_addc_u32 s31, 0, s31
	v_add_co_u32 v0, s30, v0, s30
	s_delay_alu instid0(VALU_DEP_1) | instskip(SKIP_1) | instid1(VALU_DEP_1)
	s_cmp_lg_u32 s30, 0
	s_addc_u32 s27, s27, s31
	v_readfirstlane_b32 s30, v0
	s_mul_i32 s36, s20, s27
	s_mul_hi_u32 s31, s20, s27
	s_mul_hi_u32 s37, s21, s27
	s_mul_i32 s27, s21, s27
	s_mul_hi_u32 s38, s20, s30
	s_mul_hi_u32 s39, s21, s30
	s_mul_i32 s30, s21, s30
	s_add_u32 s36, s38, s36
	s_addc_u32 s31, 0, s31
	s_add_u32 s30, s36, s30
	s_addc_u32 s30, s31, s39
	s_addc_u32 s31, s37, 0
	s_add_u32 s30, s30, s27
	s_addc_u32 s31, 0, s31
	s_mul_hi_u32 s27, s28, s30
	s_mul_i32 s37, s28, s31
	s_mul_i32 s38, s28, s30
	s_add_i32 s27, s27, s37
	v_sub_co_u32 v0, s37, s20, s38
	s_mul_i32 s36, s29, s30
	s_delay_alu instid0(SALU_CYCLE_1) | instskip(NEXT) | instid1(VALU_DEP_1)
	s_add_i32 s27, s27, s36
	v_sub_co_u32 v1, s38, v0, s28
	s_sub_i32 s36, s21, s27
	s_cmp_lg_u32 s37, 0
	s_subb_u32 s36, s36, s29
	s_cmp_lg_u32 s38, 0
	v_readfirstlane_b32 s38, v1
	s_subb_u32 s36, s36, 0
	s_delay_alu instid0(SALU_CYCLE_1) | instskip(SKIP_1) | instid1(VALU_DEP_1)
	s_cmp_ge_u32 s36, s29
	s_cselect_b32 s39, -1, 0
	s_cmp_ge_u32 s38, s28
	s_cselect_b32 s38, -1, 0
	s_cmp_eq_u32 s36, s29
	s_cselect_b32 s36, s38, s39
	s_add_u32 s38, s30, 1
	s_addc_u32 s39, s31, 0
	s_add_u32 s40, s30, 2
	s_addc_u32 s41, s31, 0
	s_cmp_lg_u32 s36, 0
	s_cselect_b32 s36, s40, s38
	s_cselect_b32 s38, s41, s39
	s_cmp_lg_u32 s37, 0
	v_readfirstlane_b32 s37, v0
	s_subb_u32 s27, s21, s27
	s_delay_alu instid0(SALU_CYCLE_1) | instskip(SKIP_1) | instid1(VALU_DEP_1)
	s_cmp_ge_u32 s27, s29
	s_cselect_b32 s39, -1, 0
	s_cmp_ge_u32 s37, s28
	s_cselect_b32 s37, -1, 0
	s_cmp_eq_u32 s27, s29
	s_cselect_b32 s27, s37, s39
	s_delay_alu instid0(SALU_CYCLE_1)
	s_cmp_lg_u32 s27, 0
	s_mov_b32 s27, 0
	s_cselect_b32 s31, s38, s31
	s_cselect_b32 s30, s36, s30
.LBB0_8:                                ;   in Loop: Header=BB0_6 Depth=1
	s_and_not1_b32 vcc_lo, exec_lo, s27
	s_cbranch_vccnz .LBB0_10
; %bb.9:                                ;   in Loop: Header=BB0_6 Depth=1
	v_cvt_f32_u32_e32 v0, s28
	s_sub_i32 s30, 0, s28
	s_waitcnt_depctr 0xfff
	v_rcp_iflag_f32_e32 v0, v0
	s_waitcnt_depctr 0xfff
	v_mul_f32_e32 v0, 0x4f7ffffe, v0
	s_delay_alu instid0(VALU_DEP_1) | instskip(NEXT) | instid1(VALU_DEP_1)
	v_cvt_u32_f32_e32 v0, v0
	v_readfirstlane_b32 s27, v0
	s_delay_alu instid0(VALU_DEP_1) | instskip(NEXT) | instid1(SALU_CYCLE_1)
	s_mul_i32 s30, s30, s27
	s_mul_hi_u32 s30, s27, s30
	s_delay_alu instid0(SALU_CYCLE_1) | instskip(NEXT) | instid1(SALU_CYCLE_1)
	s_add_i32 s27, s27, s30
	s_mul_hi_u32 s27, s20, s27
	s_delay_alu instid0(SALU_CYCLE_1) | instskip(SKIP_2) | instid1(SALU_CYCLE_1)
	s_mul_i32 s30, s27, s28
	s_add_i32 s31, s27, 1
	s_sub_i32 s30, s20, s30
	s_sub_i32 s36, s30, s28
	s_cmp_ge_u32 s30, s28
	s_cselect_b32 s27, s31, s27
	s_cselect_b32 s30, s36, s30
	s_add_i32 s31, s27, 1
	s_cmp_ge_u32 s30, s28
	s_cselect_b32 s30, s31, s27
	s_mov_b32 s31, s26
.LBB0_10:                               ;   in Loop: Header=BB0_6 Depth=1
	s_load_b64 s[36:37], s[22:23], 0x0
	s_mul_i32 s19, s28, s19
	s_mul_hi_u32 s27, s28, s18
	s_mul_i32 s38, s29, s18
	s_mul_i32 s29, s30, s29
	s_mul_hi_u32 s39, s30, s28
	s_mul_i32 s40, s31, s28
	s_add_i32 s19, s27, s19
	s_add_i32 s27, s39, s29
	s_mul_i32 s41, s30, s28
	s_add_i32 s19, s19, s38
	s_add_i32 s27, s27, s40
	s_sub_u32 s20, s20, s41
	s_subb_u32 s21, s21, s27
	s_mul_i32 s18, s28, s18
	s_waitcnt lgkmcnt(0)
	s_mul_i32 s21, s36, s21
	s_mul_hi_u32 s27, s36, s20
	s_delay_alu instid0(SALU_CYCLE_1)
	s_add_i32 s21, s27, s21
	s_mul_i32 s27, s37, s20
	s_mul_i32 s20, s36, s20
	s_add_i32 s21, s21, s27
	s_add_u32 s13, s20, s13
	s_addc_u32 s35, s21, s35
	s_add_u32 s24, s24, 1
	s_addc_u32 s25, s25, 0
	s_add_u32 s22, s22, 8
	v_cmp_ge_u64_e64 s20, s[24:25], s[6:7]
	s_addc_u32 s23, s23, 0
	s_add_u32 s8, s8, 8
	s_addc_u32 s9, s9, 0
	s_delay_alu instid0(VALU_DEP_1)
	s_and_b32 vcc_lo, exec_lo, s20
	s_cbranch_vccnz .LBB0_12
; %bb.11:                               ;   in Loop: Header=BB0_6 Depth=1
	s_mov_b64 s[20:21], s[30:31]
	s_branch .LBB0_6
.LBB0_12:
	v_cmp_lt_u64_e64 s8, s[16:17], s[18:19]
	s_mov_b64 s[20:21], 0
	s_delay_alu instid0(VALU_DEP_1)
	s_and_b32 vcc_lo, exec_lo, s8
	s_cbranch_vccnz .LBB0_14
; %bb.13:
	v_cvt_f32_u32_e32 v0, s18
	s_sub_i32 s9, 0, s18
	s_delay_alu instid0(VALU_DEP_1) | instskip(SKIP_2) | instid1(VALU_DEP_1)
	v_rcp_iflag_f32_e32 v0, v0
	s_waitcnt_depctr 0xfff
	v_mul_f32_e32 v0, 0x4f7ffffe, v0
	v_cvt_u32_f32_e32 v0, v0
	s_delay_alu instid0(VALU_DEP_1) | instskip(NEXT) | instid1(VALU_DEP_1)
	v_readfirstlane_b32 s8, v0
	s_mul_i32 s9, s9, s8
	s_delay_alu instid0(SALU_CYCLE_1) | instskip(NEXT) | instid1(SALU_CYCLE_1)
	s_mul_hi_u32 s9, s8, s9
	s_add_i32 s8, s8, s9
	s_delay_alu instid0(SALU_CYCLE_1) | instskip(NEXT) | instid1(SALU_CYCLE_1)
	s_mul_hi_u32 s8, s16, s8
	s_mul_i32 s9, s8, s18
	s_delay_alu instid0(SALU_CYCLE_1)
	s_sub_i32 s9, s16, s9
	s_add_i32 s16, s8, 1
	s_sub_i32 s17, s9, s18
	s_cmp_ge_u32 s9, s18
	s_cselect_b32 s8, s16, s8
	s_cselect_b32 s9, s17, s9
	s_add_i32 s16, s8, 1
	s_cmp_ge_u32 s9, s18
	s_cselect_b32 s20, s16, s8
.LBB0_14:
	scratch_load_b32 v1, off, off offset:8  ; 4-byte Folded Reload
	s_lshl_b64 s[6:7], s[6:7], 3
	s_delay_alu instid0(SALU_CYCLE_1) | instskip(SKIP_4) | instid1(SALU_CYCLE_1)
	s_add_u32 s6, s10, s6
	s_addc_u32 s7, s11, s7
	s_load_b64 s[6:7], s[6:7], 0x0
	s_waitcnt lgkmcnt(0)
	s_mul_i32 s6, s6, s20
	s_add_u32 s13, s6, s13
	s_add_u32 s6, s34, 7
	s_waitcnt vmcnt(0)
	v_mul_hi_u32 v69, 0x24924925, v1
	s_delay_alu instid0(VALU_DEP_1) | instskip(NEXT) | instid1(VALU_DEP_1)
	v_mul_u32_u24_e32 v0, 7, v69
	v_sub_nc_u32_e32 v255, v1, v0
	s_delay_alu instid0(VALU_DEP_1) | instskip(SKIP_1) | instid1(VALU_DEP_1)
	v_mad_u64_u32 v[57:58], null, s14, v255, 0
	v_add_co_u32 v4, s7, s34, v255
	v_add_co_ci_u32_e64 v5, null, s33, 0, s7
	s_delay_alu instid0(VALU_DEP_2) | instskip(NEXT) | instid1(VALU_DEP_4)
	v_dual_mov_b32 v7, 0 :: v_dual_mov_b32 v0, v4
	v_dual_mov_b32 v1, v58 :: v_dual_mov_b32 v8, 0
	s_addc_u32 s7, s33, 0
	s_delay_alu instid0(VALU_DEP_3) | instskip(SKIP_1) | instid1(VALU_DEP_3)
	v_cmp_gt_u64_e32 vcc_lo, s[4:5], v[4:5]
	v_cmp_le_u64_e64 s6, s[6:7], s[4:5]
	v_mad_u64_u32 v[2:3], null, s15, v255, v[1:2]
	scratch_store_b64 off, v[0:1], off offset:220 ; 8-byte Folded Spill
	v_mov_b32_e32 v3, v7
	v_dual_mov_b32 v1, v7 :: v_dual_mov_b32 v2, v8
	v_dual_mov_b32 v5, 0 :: v_dual_mov_b32 v4, v8
	s_or_b32 s33, s6, vcc_lo
	s_delay_alu instid0(SALU_CYCLE_1)
	s_and_saveexec_b32 s4, s33
	s_cbranch_execz .LBB0_16
; %bb.15:
	v_mul_lo_u32 v0, s12, v69
	s_delay_alu instid0(VALU_DEP_1) | instskip(NEXT) | instid1(VALU_DEP_1)
	v_add3_u32 v4, s13, v57, v0
	v_lshlrev_b64 v[1:2], 4, v[4:5]
	s_delay_alu instid0(VALU_DEP_1) | instskip(NEXT) | instid1(VALU_DEP_2)
	v_add_co_u32 v1, vcc_lo, s2, v1
	v_add_co_ci_u32_e32 v2, vcc_lo, s3, v2, vcc_lo
	global_load_b128 v[1:4], v[1:2], off
.LBB0_16:
	s_or_b32 exec_lo, exec_lo, s4
	v_dual_mov_b32 v5, v7 :: v_dual_mov_b32 v6, v8
	s_and_saveexec_b32 s4, s33
	s_cbranch_execz .LBB0_18
; %bb.17:
	v_add_nc_u32_e32 v0, 17, v69
	v_mov_b32_e32 v6, 0
	s_delay_alu instid0(VALU_DEP_2) | instskip(NEXT) | instid1(VALU_DEP_1)
	v_mul_lo_u32 v0, s12, v0
	v_add3_u32 v5, s13, v57, v0
	s_delay_alu instid0(VALU_DEP_1) | instskip(NEXT) | instid1(VALU_DEP_1)
	v_lshlrev_b64 v[5:6], 4, v[5:6]
	v_add_co_u32 v5, vcc_lo, s2, v5
	s_delay_alu instid0(VALU_DEP_2)
	v_add_co_ci_u32_e32 v6, vcc_lo, s3, v6, vcc_lo
	global_load_b128 v[5:8], v[5:6], off
.LBB0_18:
	s_or_b32 exec_lo, exec_lo, s4
	v_mov_b32_e32 v15, 0
	v_mov_b32_e32 v16, 0
	s_delay_alu instid0(VALU_DEP_2) | instskip(NEXT) | instid1(VALU_DEP_2)
	v_mov_b32_e32 v11, v15
	v_dual_mov_b32 v9, v15 :: v_dual_mov_b32 v10, v16
	v_mov_b32_e32 v12, v16
	s_and_saveexec_b32 s4, s33
	s_cbranch_execz .LBB0_20
; %bb.19:
	v_add_nc_u32_e32 v0, 34, v69
	v_mov_b32_e32 v10, 0
	s_delay_alu instid0(VALU_DEP_2) | instskip(NEXT) | instid1(VALU_DEP_1)
	v_mul_lo_u32 v0, s12, v0
	v_add3_u32 v9, s13, v57, v0
	s_delay_alu instid0(VALU_DEP_1) | instskip(NEXT) | instid1(VALU_DEP_1)
	v_lshlrev_b64 v[9:10], 4, v[9:10]
	v_add_co_u32 v9, vcc_lo, s2, v9
	s_delay_alu instid0(VALU_DEP_2)
	v_add_co_ci_u32_e32 v10, vcc_lo, s3, v10, vcc_lo
	global_load_b128 v[9:12], v[9:10], off
.LBB0_20:
	s_or_b32 exec_lo, exec_lo, s4
	v_dual_mov_b32 v13, v15 :: v_dual_mov_b32 v14, v16
	s_and_saveexec_b32 s4, s33
	s_cbranch_execz .LBB0_22
; %bb.21:
	v_add_nc_u32_e32 v0, 51, v69
	v_mov_b32_e32 v14, 0
	s_delay_alu instid0(VALU_DEP_2) | instskip(NEXT) | instid1(VALU_DEP_1)
	v_mul_lo_u32 v0, s12, v0
	v_add3_u32 v13, s13, v57, v0
	s_delay_alu instid0(VALU_DEP_1) | instskip(NEXT) | instid1(VALU_DEP_1)
	v_lshlrev_b64 v[13:14], 4, v[13:14]
	v_add_co_u32 v13, vcc_lo, s2, v13
	s_delay_alu instid0(VALU_DEP_2)
	v_add_co_ci_u32_e32 v14, vcc_lo, s3, v14, vcc_lo
	global_load_b128 v[13:16], v[13:14], off
.LBB0_22:
	s_or_b32 exec_lo, exec_lo, s4
	v_mov_b32_e32 v23, 0
	v_mov_b32_e32 v24, 0
	s_delay_alu instid0(VALU_DEP_2) | instskip(NEXT) | instid1(VALU_DEP_2)
	v_mov_b32_e32 v19, v23
	v_dual_mov_b32 v17, v23 :: v_dual_mov_b32 v18, v24
	v_mov_b32_e32 v20, v24
	s_and_saveexec_b32 s4, s33
	s_cbranch_execz .LBB0_24
; %bb.23:
	v_add_nc_u32_e32 v0, 0x44, v69
	v_mov_b32_e32 v18, 0
	s_delay_alu instid0(VALU_DEP_2) | instskip(NEXT) | instid1(VALU_DEP_1)
	v_mul_lo_u32 v0, s12, v0
	v_add3_u32 v17, s13, v57, v0
	s_delay_alu instid0(VALU_DEP_1) | instskip(NEXT) | instid1(VALU_DEP_1)
	v_lshlrev_b64 v[17:18], 4, v[17:18]
	v_add_co_u32 v17, vcc_lo, s2, v17
	s_delay_alu instid0(VALU_DEP_2)
	v_add_co_ci_u32_e32 v18, vcc_lo, s3, v18, vcc_lo
	global_load_b128 v[17:20], v[17:18], off
.LBB0_24:
	;; [unrolled: 39-line block ×3, first 2 shown]
	s_or_b32 exec_lo, exec_lo, s4
	v_dual_mov_b32 v29, v31 :: v_dual_mov_b32 v30, v32
	s_and_saveexec_b32 s4, s33
	s_cbranch_execz .LBB0_30
; %bb.29:
	v_add_nc_u32_e32 v0, 0x77, v69
	v_mov_b32_e32 v30, 0
	s_delay_alu instid0(VALU_DEP_2) | instskip(NEXT) | instid1(VALU_DEP_1)
	v_mul_lo_u32 v0, s12, v0
	v_add3_u32 v29, s13, v57, v0
	s_delay_alu instid0(VALU_DEP_1) | instskip(NEXT) | instid1(VALU_DEP_1)
	v_lshlrev_b64 v[29:30], 4, v[29:30]
	v_add_co_u32 v29, vcc_lo, s2, v29
	s_delay_alu instid0(VALU_DEP_2)
	v_add_co_ci_u32_e32 v30, vcc_lo, s3, v30, vcc_lo
	global_load_b128 v[29:32], v[29:30], off
.LBB0_30:
	s_or_b32 exec_lo, exec_lo, s4
	v_mov_b32_e32 v35, 0
	v_mov_b32_e32 v36, 0
	s_delay_alu instid0(VALU_DEP_1)
	v_dual_mov_b32 v40, v36 :: v_dual_mov_b32 v39, v35
	v_dual_mov_b32 v38, v36 :: v_dual_mov_b32 v37, v35
	s_and_saveexec_b32 s4, s33
	s_cbranch_execz .LBB0_32
; %bb.31:
	v_add_nc_u32_e32 v0, 0x88, v69
	v_mov_b32_e32 v34, 0
	s_delay_alu instid0(VALU_DEP_2) | instskip(NEXT) | instid1(VALU_DEP_1)
	v_mul_lo_u32 v0, s12, v0
	v_add3_u32 v33, s13, v57, v0
	s_delay_alu instid0(VALU_DEP_1) | instskip(NEXT) | instid1(VALU_DEP_1)
	v_lshlrev_b64 v[33:34], 4, v[33:34]
	v_add_co_u32 v33, vcc_lo, s2, v33
	s_delay_alu instid0(VALU_DEP_2)
	v_add_co_ci_u32_e32 v34, vcc_lo, s3, v34, vcc_lo
	global_load_b128 v[37:40], v[33:34], off
.LBB0_32:
	s_or_b32 exec_lo, exec_lo, s4
	v_dual_mov_b32 v33, v35 :: v_dual_mov_b32 v34, v36
	s_and_saveexec_b32 s4, s33
	s_cbranch_execz .LBB0_34
; %bb.33:
	v_add_nc_u32_e32 v0, 0x99, v69
	v_mov_b32_e32 v34, 0
	s_delay_alu instid0(VALU_DEP_2) | instskip(NEXT) | instid1(VALU_DEP_1)
	v_mul_lo_u32 v0, s12, v0
	v_add3_u32 v33, s13, v57, v0
	s_delay_alu instid0(VALU_DEP_1) | instskip(NEXT) | instid1(VALU_DEP_1)
	v_lshlrev_b64 v[33:34], 4, v[33:34]
	v_add_co_u32 v33, vcc_lo, s2, v33
	s_delay_alu instid0(VALU_DEP_2)
	v_add_co_ci_u32_e32 v34, vcc_lo, s3, v34, vcc_lo
	global_load_b128 v[33:36], v[33:34], off
.LBB0_34:
	s_or_b32 exec_lo, exec_lo, s4
	v_mov_b32_e32 v43, 0
	v_mov_b32_e32 v44, 0
	s_delay_alu instid0(VALU_DEP_1)
	v_dual_mov_b32 v48, v44 :: v_dual_mov_b32 v47, v43
	v_dual_mov_b32 v46, v44 :: v_dual_mov_b32 v45, v43
	s_and_saveexec_b32 s4, s33
	s_cbranch_execz .LBB0_36
; %bb.35:
	v_add_nc_u32_e32 v0, 0xaa, v69
	v_mov_b32_e32 v42, 0
	s_delay_alu instid0(VALU_DEP_2) | instskip(NEXT) | instid1(VALU_DEP_1)
	v_mul_lo_u32 v0, s12, v0
	v_add3_u32 v41, s13, v57, v0
	s_delay_alu instid0(VALU_DEP_1) | instskip(NEXT) | instid1(VALU_DEP_1)
	v_lshlrev_b64 v[41:42], 4, v[41:42]
	v_add_co_u32 v41, vcc_lo, s2, v41
	s_delay_alu instid0(VALU_DEP_2)
	v_add_co_ci_u32_e32 v42, vcc_lo, s3, v42, vcc_lo
	global_load_b128 v[45:48], v[41:42], off
.LBB0_36:
	;; [unrolled: 38-line block ×3, first 2 shown]
	s_or_b32 exec_lo, exec_lo, s4
	v_dual_mov_b32 v49, v51 :: v_dual_mov_b32 v50, v52
	s_and_saveexec_b32 s4, s33
	s_cbranch_execz .LBB0_42
; %bb.41:
	v_add_nc_u32_e32 v0, 0xdd, v69
	v_mov_b32_e32 v50, 0
	s_delay_alu instid0(VALU_DEP_2) | instskip(NEXT) | instid1(VALU_DEP_1)
	v_mul_lo_u32 v0, s12, v0
	v_add3_u32 v49, s13, v57, v0
	s_delay_alu instid0(VALU_DEP_1) | instskip(NEXT) | instid1(VALU_DEP_1)
	v_lshlrev_b64 v[49:50], 4, v[49:50]
	v_add_co_u32 v49, vcc_lo, s2, v49
	s_delay_alu instid0(VALU_DEP_2)
	v_add_co_ci_u32_e32 v50, vcc_lo, s3, v50, vcc_lo
	global_load_b128 v[49:52], v[49:50], off
.LBB0_42:
	s_or_b32 exec_lo, exec_lo, s4
	v_mov_b32_e32 v59, 0
	v_mov_b32_e32 v60, 0
	scratch_store_b64 off, v[57:58], off    ; 8-byte Folded Spill
	v_dual_mov_b32 v64, v60 :: v_dual_mov_b32 v63, v59
	v_dual_mov_b32 v62, v60 :: v_dual_mov_b32 v61, v59
	s_and_saveexec_b32 s4, s33
	s_cbranch_execz .LBB0_44
; %bb.43:
	scratch_load_b64 v[61:62], off, off     ; 8-byte Folded Reload
	v_add_nc_u32_e32 v0, 0xee, v69
	v_mov_b32_e32 v58, 0
	s_delay_alu instid0(VALU_DEP_2) | instskip(SKIP_1) | instid1(VALU_DEP_1)
	v_mul_lo_u32 v0, s12, v0
	s_waitcnt vmcnt(0)
	v_add3_u32 v57, s13, v61, v0
	s_delay_alu instid0(VALU_DEP_1) | instskip(NEXT) | instid1(VALU_DEP_1)
	v_lshlrev_b64 v[57:58], 4, v[57:58]
	v_add_co_u32 v57, vcc_lo, s2, v57
	s_delay_alu instid0(VALU_DEP_2)
	v_add_co_ci_u32_e32 v58, vcc_lo, s3, v58, vcc_lo
	global_load_b128 v[61:64], v[57:58], off
.LBB0_44:
	s_or_b32 exec_lo, exec_lo, s4
	v_dual_mov_b32 v57, v59 :: v_dual_mov_b32 v58, v60
	s_and_saveexec_b32 s4, s33
	s_cbranch_execz .LBB0_46
; %bb.45:
	scratch_load_b64 v[59:60], off, off     ; 8-byte Folded Reload
	v_add_nc_u32_e32 v0, 0xff, v69
	v_mov_b32_e32 v58, 0
	s_delay_alu instid0(VALU_DEP_2) | instskip(SKIP_1) | instid1(VALU_DEP_1)
	v_mul_lo_u32 v0, s12, v0
	s_waitcnt vmcnt(0)
	v_add3_u32 v57, s13, v59, v0
	s_delay_alu instid0(VALU_DEP_1) | instskip(NEXT) | instid1(VALU_DEP_1)
	v_lshlrev_b64 v[57:58], 4, v[57:58]
	v_add_co_u32 v57, vcc_lo, s2, v57
	s_delay_alu instid0(VALU_DEP_2)
	v_add_co_ci_u32_e32 v58, vcc_lo, s3, v58, vcc_lo
	global_load_b128 v[57:60], v[57:58], off
.LBB0_46:
	s_or_b32 exec_lo, exec_lo, s4
	v_mov_b32_e32 v67, 0
	v_mov_b32_e32 v68, 0
	s_delay_alu instid0(VALU_DEP_1)
	v_dual_mov_b32 v65, v67 :: v_dual_mov_b32 v66, v68
	s_and_saveexec_b32 s4, s33
	s_cbranch_execz .LBB0_48
; %bb.47:
	scratch_load_b64 v[67:68], off, off     ; 8-byte Folded Reload
	v_add_nc_u32_e32 v0, 0x110, v69
	v_mov_b32_e32 v66, 0
	s_delay_alu instid0(VALU_DEP_2) | instskip(SKIP_1) | instid1(VALU_DEP_1)
	v_mul_lo_u32 v0, s12, v0
	s_waitcnt vmcnt(0)
	v_add3_u32 v65, s13, v67, v0
	s_delay_alu instid0(VALU_DEP_1) | instskip(NEXT) | instid1(VALU_DEP_1)
	v_lshlrev_b64 v[65:66], 4, v[65:66]
	v_add_co_u32 v65, vcc_lo, s2, v65
	s_delay_alu instid0(VALU_DEP_2)
	v_add_co_ci_u32_e32 v66, vcc_lo, s3, v66, vcc_lo
	global_load_b128 v[65:68], v[65:66], off
.LBB0_48:
	s_or_b32 exec_lo, exec_lo, s4
	s_waitcnt vmcnt(0)
	v_add_f64 v[72:73], v[1:2], v[5:6]
	v_add_f64 v[74:75], v[3:4], v[7:8]
	;; [unrolled: 1-line block ×3, first 2 shown]
	v_add_f64 v[128:129], v[37:38], -v[33:34]
	v_add_f64 v[138:139], v[25:26], v[41:42]
	v_add_f64 v[136:137], v[25:26], -v[41:42]
	v_add_f64 v[134:135], v[29:30], v[45:46]
	;; [unrolled: 2-line block ×6, first 2 shown]
	v_add_f64 v[178:179], v[9:10], -v[57:58]
	s_mov_b32 s4, 0x370991
	s_mov_b32 s22, 0x75d4884
	s_mov_b32 s8, 0x2b2883cd
	s_mov_b32 s24, 0x3259b75e
	s_mov_b32 s14, 0xc61f0d01
	s_mov_b32 s20, 0x6ed5f1bb
	s_mov_b32 s16, 0x910ea3b9
	s_mov_b32 s18, 0x7faef3
	s_mov_b32 s5, 0x3fedd6d0
	s_mov_b32 s23, 0x3fe7a5f6
	s_mov_b32 s9, 0x3fdc86fa
	s_mov_b32 s25, 0x3fb79ee6
	s_mov_b32 s15, 0xbfd183b1
	s_mov_b32 s21, 0xbfe348c8
	s_mov_b32 s17, 0xbfeb34fa
	s_mov_b32 s19, 0xbfef7484
	s_mov_b32 s6, 0x5d8e7cdc
	s_mov_b32 s48, 0x2a9d6da3
	s_mov_b32 s10, 0x7c9e640b
	s_mov_b32 s54, 0xeb564b22
	s_mov_b32 s28, 0x923c349f
	s_mov_b32 s52, 0x6c9a05f6
	v_add_f64 v[72:73], v[72:73], v[9:10]
	v_add_f64 v[74:75], v[74:75], v[11:12]
	s_mov_b32 s30, 0x4363dd80
	s_mov_b32 s50, 0xacd6c6b4
	;; [unrolled: 1-line block ×26, first 2 shown]
	v_mul_f64 v[112:113], v[142:143], s[16:17]
	v_mul_f64 v[114:115], v[140:141], s[30:31]
	;; [unrolled: 1-line block ×10, first 2 shown]
	v_add_f64 v[72:73], v[72:73], v[13:14]
	v_add_f64 v[74:75], v[74:75], v[15:16]
	v_mul_f64 v[160:161], v[142:143], s[22:23]
	v_mul_f64 v[162:163], v[140:141], s[48:49]
	;; [unrolled: 1-line block ×28, first 2 shown]
	v_add_f64 v[72:73], v[72:73], v[17:18]
	v_add_f64 v[74:75], v[74:75], v[19:20]
	s_delay_alu instid0(VALU_DEP_2) | instskip(NEXT) | instid1(VALU_DEP_2)
	v_add_f64 v[72:73], v[72:73], v[21:22]
	v_add_f64 v[74:75], v[74:75], v[23:24]
	s_delay_alu instid0(VALU_DEP_2) | instskip(NEXT) | instid1(VALU_DEP_2)
	v_add_f64 v[72:73], v[72:73], v[25:26]
	v_add_f64 v[74:75], v[74:75], v[27:28]
	v_add_f64 v[25:26], v[27:28], -v[43:44]
	s_delay_alu instid0(VALU_DEP_3) | instskip(NEXT) | instid1(VALU_DEP_3)
	v_add_f64 v[72:73], v[72:73], v[29:30]
	v_add_f64 v[76:77], v[74:75], v[31:32]
	v_add_f64 v[29:30], v[31:32], -v[47:48]
	s_delay_alu instid0(VALU_DEP_3) | instskip(NEXT) | instid1(VALU_DEP_3)
	v_add_f64 v[74:75], v[72:73], v[37:38]
	v_add_f64 v[76:77], v[76:77], v[39:40]
	;; [unrolled: 1-line block ×3, first 2 shown]
	v_add_f64 v[37:38], v[39:40], -v[35:36]
	s_delay_alu instid0(VALU_DEP_4) | instskip(NEXT) | instid1(VALU_DEP_4)
	v_add_f64 v[39:40], v[74:75], v[33:34]
	v_add_f64 v[35:36], v[76:77], v[35:36]
	;; [unrolled: 1-line block ×7, first 2 shown]
	v_add_f64 v[45:46], v[15:16], -v[63:64]
	v_add_f64 v[47:48], v[11:12], v[59:60]
	s_delay_alu instid0(VALU_DEP_4) | instskip(NEXT) | instid1(VALU_DEP_4)
	v_add_f64 v[39:40], v[39:40], v[41:42]
	v_add_f64 v[41:42], v[35:36], v[43:44]
	v_add_f64 v[35:36], v[23:24], -v[55:56]
	v_add_f64 v[43:44], v[15:16], v[63:64]
	s_delay_alu instid0(VALU_DEP_4) | instskip(NEXT) | instid1(VALU_DEP_4)
	v_add_f64 v[21:22], v[39:40], v[53:54]
	v_add_f64 v[23:24], v[41:42], v[55:56]
	v_add_f64 v[39:40], v[19:20], v[51:52]
	v_add_f64 v[41:42], v[19:20], -v[51:52]
	s_delay_alu instid0(VALU_DEP_4) | instskip(NEXT) | instid1(VALU_DEP_4)
	v_add_f64 v[17:18], v[21:22], v[49:50]
	v_add_f64 v[19:20], v[23:24], v[51:52]
	v_add_f64 v[49:50], v[11:12], -v[59:60]
	s_delay_alu instid0(VALU_DEP_3) | instskip(NEXT) | instid1(VALU_DEP_3)
	v_add_f64 v[13:14], v[17:18], v[61:62]
	v_add_f64 v[15:16], v[19:20], v[63:64]
	v_add_f64 v[17:18], v[5:6], -v[65:66]
	v_add_f64 v[19:20], v[7:8], -v[67:68]
	s_delay_alu instid0(VALU_DEP_4) | instskip(NEXT) | instid1(VALU_DEP_4)
	v_add_f64 v[9:10], v[13:14], v[57:58]
	v_add_f64 v[11:12], v[15:16], v[59:60]
	;; [unrolled: 1-line block ×4, first 2 shown]
	v_mul_f64 v[84:85], v[17:18], s[46:47]
	v_mul_f64 v[86:87], v[17:18], s[36:37]
	;; [unrolled: 1-line block ×3, first 2 shown]
	v_add_f64 v[184:185], v[9:10], v[65:66]
	v_add_f64 v[186:187], v[11:12], v[67:68]
	v_mul_f64 v[9:10], v[13:14], s[4:5]
	v_mul_f64 v[11:12], v[13:14], s[22:23]
	;; [unrolled: 1-line block ×8, first 2 shown]
	v_fma_f64 v[104:105], v[15:16], s[14:15], v[84:85]
	v_fma_f64 v[84:85], v[15:16], s[14:15], -v[84:85]
	v_fma_f64 v[106:107], v[15:16], s[20:21], v[86:87]
	v_fma_f64 v[86:87], v[15:16], s[20:21], -v[86:87]
	;; [unrolled: 2-line block ×3, first 2 shown]
	v_fma_f64 v[57:58], v[19:20], s[6:7], v[9:10]
	v_fma_f64 v[9:10], v[19:20], s[40:41], v[9:10]
	v_fma_f64 v[59:60], v[19:20], s[48:49], v[11:12]
	v_fma_f64 v[11:12], v[19:20], s[26:27], v[11:12]
	v_fma_f64 v[61:62], v[19:20], s[10:11], v[21:22]
	v_fma_f64 v[21:22], v[19:20], s[44:45], v[21:22]
	v_fma_f64 v[63:64], v[19:20], s[54:55], v[23:24]
	v_fma_f64 v[23:24], v[19:20], s[34:35], v[23:24]
	v_fma_f64 v[65:66], v[19:20], s[28:29], v[51:52]
	v_fma_f64 v[67:68], v[19:20], s[46:47], v[51:52]
	v_fma_f64 v[74:75], v[19:20], s[52:53], v[53:54]
	v_fma_f64 v[76:77], v[19:20], s[36:37], v[53:54]
	v_fma_f64 v[78:79], v[19:20], s[30:31], v[55:56]
	v_fma_f64 v[80:81], v[19:20], s[42:43], v[55:56]
	v_fma_f64 v[82:83], v[19:20], s[50:51], v[13:14]
	v_fma_f64 v[13:14], v[19:20], s[38:39], v[13:14]
	v_mul_f64 v[19:20], v[17:18], s[40:41]
	v_mul_f64 v[51:52], v[17:18], s[26:27]
	;; [unrolled: 1-line block ×5, first 2 shown]
	v_add_f64 v[191:192], v[3:4], v[104:105]
	v_add_f64 v[195:196], v[3:4], v[106:107]
	;; [unrolled: 1-line block ×5, first 2 shown]
	v_mul_f64 v[86:87], v[132:133], s[42:43]
	v_mul_f64 v[88:89], v[130:131], s[18:19]
	;; [unrolled: 1-line block ×5, first 2 shown]
	v_add_f64 v[5:6], v[1:2], v[9:10]
	v_add_f64 v[9:10], v[1:2], v[59:60]
	;; [unrolled: 1-line block ×8, first 2 shown]
	v_mul_f64 v[82:83], v[136:137], s[36:37]
	v_fma_f64 v[90:91], v[15:16], s[4:5], v[19:20]
	v_fma_f64 v[19:20], v[15:16], s[4:5], -v[19:20]
	v_fma_f64 v[94:95], v[15:16], s[22:23], -v[51:52]
	v_fma_f64 v[98:99], v[15:16], s[8:9], -v[53:54]
	v_fma_f64 v[102:103], v[15:16], s[24:25], -v[55:56]
	v_fma_f64 v[92:93], v[15:16], s[22:23], v[51:52]
	v_fma_f64 v[96:97], v[15:16], s[8:9], v[53:54]
	;; [unrolled: 1-line block ×4, first 2 shown]
	v_fma_f64 v[15:16], v[15:16], s[18:19], -v[17:18]
	v_add_f64 v[17:18], v[1:2], v[57:58]
	v_mul_f64 v[74:75], v[152:153], s[14:15]
	scratch_store_b64 off, v[5:6], off offset:12 ; 8-byte Folded Spill
	v_add_f64 v[90:91], v[3:4], v[90:91]
	v_add_f64 v[5:6], v[3:4], v[19:20]
	;; [unrolled: 1-line block ×6, first 2 shown]
	v_mul_f64 v[100:101], v[180:181], s[24:25]
	v_mul_f64 v[110:111], v[148:149], s[38:39]
	scratch_store_b64 off, v[5:6], off offset:28 ; 8-byte Folded Spill
	v_add_f64 v[5:6], v[1:2], v[11:12]
	scratch_store_b64 off, v[5:6], off offset:60 ; 8-byte Folded Spill
	v_add_f64 v[5:6], v[3:4], v[94:95]
	scratch_store_b64 off, v[5:6], off offset:44 ; 8-byte Folded Spill
	v_add_f64 v[5:6], v[1:2], v[21:22]
	v_add_f64 v[21:22], v[1:2], v[63:64]
	scratch_store_b64 off, v[5:6], off offset:164 ; 8-byte Folded Spill
	v_add_f64 v[5:6], v[3:4], v[98:99]
	scratch_store_b64 off, v[5:6], off offset:156 ; 8-byte Folded Spill
	v_add_f64 v[5:6], v[1:2], v[23:24]
	v_add_f64 v[23:24], v[1:2], v[65:66]
	scratch_store_b64 off, v[5:6], off offset:180 ; 8-byte Folded Spill
	v_add_f64 v[5:6], v[3:4], v[102:103]
	v_mul_f64 v[102:103], v[178:179], s[34:35]
	scratch_store_b64 off, v[5:6], off offset:172 ; 8-byte Folded Spill
	v_add_f64 v[5:6], v[1:2], v[67:68]
	v_add_f64 v[0:1], v[1:2], v[13:14]
	v_fma_f64 v[13:14], v[45:46], s[52:53], v[104:105]
	v_mul_f64 v[67:68], v[172:173], s[50:51]
	s_clause 0x1
	scratch_store_b64 off, v[5:6], off offset:196
	scratch_store_b64 off, v[0:1], off offset:212
	v_add_f64 v[5:6], v[3:4], v[84:85]
	v_add_f64 v[0:1], v[3:4], v[15:16]
	v_mul_f64 v[3:4], v[178:179], s[26:27]
	v_mul_f64 v[84:85], v[134:135], s[16:17]
	s_clause 0x1
	scratch_store_b64 off, v[5:6], off offset:188
	scratch_store_b64 off, v[0:1], off offset:204
	v_mul_f64 v[0:1], v[180:181], s[22:23]
	v_mul_f64 v[5:6], v[174:175], s[8:9]
	scratch_store_b64 off, v[3:4], off offset:92 ; 8-byte Folded Spill
	v_fma_f64 v[3:4], v[47:48], s[22:23], v[3:4]
	scratch_store_b64 off, v[0:1], off offset:76 ; 8-byte Folded Spill
	v_fma_f64 v[1:2], v[49:50], s[48:49], v[0:1]
	;; [unrolled: 2-line block ×3, first 2 shown]
	v_mul_f64 v[5:6], v[172:173], s[44:45]
	v_add_f64 v[3:4], v[3:4], v[90:91]
	v_mul_f64 v[90:91], v[128:129], s[38:39]
	v_add_f64 v[1:2], v[1:2], v[17:18]
	scratch_store_b64 off, v[5:6], off offset:108 ; 8-byte Folded Spill
	v_add_f64 v[1:2], v[11:12], v[1:2]
	v_fma_f64 v[11:12], v[43:44], s[8:9], v[5:6]
	v_mul_f64 v[5:6], v[152:153], s[24:25]
	s_delay_alu instid0(VALU_DEP_2) | instskip(SKIP_3) | instid1(VALU_DEP_2)
	v_add_f64 v[3:4], v[11:12], v[3:4]
	scratch_store_b64 off, v[5:6], off offset:116 ; 8-byte Folded Spill
	v_fma_f64 v[11:12], v[41:42], s[54:55], v[5:6]
	v_mul_f64 v[5:6], v[148:149], s[34:35]
	v_add_f64 v[1:2], v[11:12], v[1:2]
	scratch_store_b64 off, v[5:6], off offset:124 ; 8-byte Folded Spill
	v_fma_f64 v[11:12], v[39:40], s[24:25], v[5:6]
	v_mul_f64 v[5:6], v[142:143], s[14:15]
	s_delay_alu instid0(VALU_DEP_2) | instskip(SKIP_3) | instid1(VALU_DEP_2)
	v_add_f64 v[3:4], v[11:12], v[3:4]
	scratch_store_b64 off, v[5:6], off offset:132 ; 8-byte Folded Spill
	v_fma_f64 v[11:12], v[35:36], s[28:29], v[5:6]
	v_mul_f64 v[5:6], v[140:141], s[46:47]
	v_add_f64 v[1:2], v[11:12], v[1:2]
	scratch_store_b64 off, v[5:6], off offset:140 ; 8-byte Folded Spill
	v_fma_f64 v[11:12], v[27:28], s[14:15], v[5:6]
	v_mul_f64 v[5:6], v[138:139], s[20:21]
	s_delay_alu instid0(VALU_DEP_2) | instskip(NEXT) | instid1(VALU_DEP_2)
	v_add_f64 v[3:4], v[11:12], v[3:4]
	v_fma_f64 v[11:12], v[25:26], s[52:53], v[5:6]
	scratch_store_b64 off, v[5:6], off offset:148 ; 8-byte Folded Spill
	v_mul_f64 v[6:7], v[140:141], s[38:39]
	v_add_f64 v[1:2], v[11:12], v[1:2]
	v_fma_f64 v[11:12], v[31:32], s[20:21], v[82:83]
	s_delay_alu instid0(VALU_DEP_1) | instskip(SKIP_1) | instid1(VALU_DEP_1)
	v_add_f64 v[3:4], v[11:12], v[3:4]
	v_fma_f64 v[11:12], v[29:30], s[30:31], v[84:85]
	v_add_f64 v[1:2], v[11:12], v[1:2]
	v_fma_f64 v[11:12], v[33:34], s[16:17], v[86:87]
	s_delay_alu instid0(VALU_DEP_1) | instskip(SKIP_1) | instid1(VALU_DEP_1)
	v_add_f64 v[3:4], v[11:12], v[3:4]
	v_fma_f64 v[11:12], v[37:38], s[50:51], v[88:89]
	v_add_f64 v[63:64], v[11:12], v[1:2]
	v_fma_f64 v[11:12], v[72:73], s[18:19], v[90:91]
	v_mul_f64 v[0:1], v[172:173], s[40:41]
	s_delay_alu instid0(VALU_DEP_2) | instskip(SKIP_2) | instid1(VALU_DEP_2)
	v_add_f64 v[65:66], v[11:12], v[3:4]
	v_fma_f64 v[11:12], v[49:50], s[54:55], v[100:101]
	v_mul_f64 v[4:5], v[142:143], s[18:19]
	v_add_f64 v[9:10], v[11:12], v[9:10]
	v_fma_f64 v[11:12], v[47:48], s[24:25], v[102:103]
	s_delay_alu instid0(VALU_DEP_3) | instskip(SKIP_1) | instid1(VALU_DEP_4)
	v_fma_f64 v[2:3], v[35:36], s[50:51], v[4:5]
	v_fma_f64 v[4:5], v[35:36], s[38:39], v[4:5]
	v_add_f64 v[9:10], v[13:14], v[9:10]
	s_delay_alu instid0(VALU_DEP_4) | instskip(SKIP_2) | instid1(VALU_DEP_2)
	v_add_f64 v[11:12], v[11:12], v[19:20]
	v_fma_f64 v[13:14], v[43:44], s[20:21], v[106:107]
	v_fma_f64 v[19:20], v[47:48], s[18:19], v[219:220]
	v_add_f64 v[11:12], v[13:14], v[11:12]
	v_fma_f64 v[13:14], v[41:42], s[50:51], v[108:109]
	s_delay_alu instid0(VALU_DEP_3) | instskip(SKIP_1) | instid1(VALU_DEP_3)
	v_add_f64 v[19:20], v[19:20], v[189:190]
	v_fma_f64 v[189:190], v[45:46], s[26:27], v[249:250]
	v_add_f64 v[9:10], v[13:14], v[9:10]
	v_fma_f64 v[13:14], v[39:40], s[18:19], v[110:111]
	s_delay_alu instid0(VALU_DEP_1) | instskip(SKIP_1) | instid1(VALU_DEP_1)
	v_add_f64 v[11:12], v[13:14], v[11:12]
	v_fma_f64 v[13:14], v[35:36], s[42:43], v[112:113]
	v_add_f64 v[9:10], v[13:14], v[9:10]
	v_fma_f64 v[13:14], v[27:28], s[16:17], v[114:115]
	s_delay_alu instid0(VALU_DEP_1) | instskip(SKIP_1) | instid1(VALU_DEP_1)
	;; [unrolled: 5-line block ×4, first 2 shown]
	v_add_f64 v[11:12], v[13:14], v[11:12]
	v_fma_f64 v[13:14], v[37:38], s[40:41], v[124:125]
	v_add_f64 v[154:155], v[13:14], v[9:10]
	v_fma_f64 v[13:14], v[72:73], s[4:5], v[126:127]
	v_mul_f64 v[8:9], v[138:139], s[24:25]
	s_delay_alu instid0(VALU_DEP_2) | instskip(SKIP_2) | instid1(VALU_DEP_2)
	v_add_f64 v[156:157], v[13:14], v[11:12]
	v_fma_f64 v[13:14], v[49:50], s[52:53], v[144:145]
	v_mul_f64 v[10:11], v[136:137], s[54:55]
	v_add_f64 v[13:14], v[13:14], v[146:147]
	v_mul_f64 v[146:147], v[178:179], s[36:37]
	s_delay_alu instid0(VALU_DEP_1) | instskip(NEXT) | instid1(VALU_DEP_1)
	v_fma_f64 v[15:16], v[47:48], s[20:21], v[146:147]
	v_add_f64 v[15:16], v[15:16], v[150:151]
	v_mul_f64 v[150:151], v[174:175], s[18:19]
	s_delay_alu instid0(VALU_DEP_1) | instskip(NEXT) | instid1(VALU_DEP_1)
	v_fma_f64 v[17:18], v[45:46], s[38:39], v[150:151]
	v_add_f64 v[13:14], v[17:18], v[13:14]
	v_fma_f64 v[17:18], v[43:44], s[18:19], v[67:68]
	s_delay_alu instid0(VALU_DEP_1) | instskip(SKIP_1) | instid1(VALU_DEP_1)
	v_add_f64 v[15:16], v[17:18], v[15:16]
	v_fma_f64 v[17:18], v[41:42], s[46:47], v[74:75]
	v_add_f64 v[13:14], v[17:18], v[13:14]
	v_fma_f64 v[17:18], v[39:40], s[14:15], v[158:159]
	s_delay_alu instid0(VALU_DEP_1) | instskip(SKIP_1) | instid1(VALU_DEP_1)
	v_add_f64 v[15:16], v[17:18], v[15:16]
	;; [unrolled: 5-line block ×5, first 2 shown]
	v_fma_f64 v[17:18], v[37:38], s[30:31], v[176:177]
	v_add_f64 v[59:60], v[17:18], v[13:14]
	v_fma_f64 v[17:18], v[72:73], s[16:17], v[182:183]
	v_mul_f64 v[12:13], v[134:135], s[4:5]
	s_delay_alu instid0(VALU_DEP_2) | instskip(SKIP_1) | instid1(VALU_DEP_1)
	v_add_f64 v[61:62], v[17:18], v[15:16]
	v_fma_f64 v[17:18], v[49:50], s[50:51], v[217:218]
	v_add_f64 v[17:18], v[17:18], v[21:22]
	v_fma_f64 v[21:22], v[45:46], s[46:47], v[221:222]
	s_delay_alu instid0(VALU_DEP_1) | instskip(SKIP_1) | instid1(VALU_DEP_1)
	v_add_f64 v[17:18], v[21:22], v[17:18]
	v_fma_f64 v[21:22], v[43:44], s[14:15], v[223:224]
	v_add_f64 v[19:20], v[21:22], v[19:20]
	v_fma_f64 v[21:22], v[41:42], s[40:41], v[225:226]
	s_delay_alu instid0(VALU_DEP_1) | instskip(SKIP_1) | instid1(VALU_DEP_1)
	;; [unrolled: 5-line block ×5, first 2 shown]
	v_add_f64 v[17:18], v[21:22], v[17:18]
	v_fma_f64 v[21:22], v[33:34], s[20:21], v[239:240]
	v_add_f64 v[19:20], v[21:22], v[19:20]
	v_fma_f64 v[21:22], v[37:38], s[26:27], v[241:242]
	s_delay_alu instid0(VALU_DEP_1) | instskip(SKIP_2) | instid1(VALU_DEP_2)
	v_add_f64 v[55:56], v[21:22], v[17:18]
	v_fma_f64 v[21:22], v[72:73], s[22:23], v[243:244]
	v_mul_f64 v[16:17], v[130:131], s[20:21]
	v_add_f64 v[57:58], v[21:22], v[19:20]
	v_fma_f64 v[21:22], v[49:50], s[42:43], v[245:246]
	s_delay_alu instid0(VALU_DEP_3) | instskip(NEXT) | instid1(VALU_DEP_2)
	v_fma_f64 v[18:19], v[37:38], s[52:53], v[16:17]
	v_add_f64 v[21:22], v[21:22], v[23:24]
	v_fma_f64 v[23:24], v[47:48], s[16:17], v[247:248]
	s_delay_alu instid0(VALU_DEP_2) | instskip(NEXT) | instid1(VALU_DEP_2)
	v_add_f64 v[21:22], v[189:190], v[21:22]
	v_add_f64 v[23:24], v[23:24], v[191:192]
	v_fma_f64 v[189:190], v[43:44], s[22:23], v[251:252]
	s_delay_alu instid0(VALU_DEP_1) | instskip(SKIP_1) | instid1(VALU_DEP_1)
	v_add_f64 v[23:24], v[189:190], v[23:24]
	v_fma_f64 v[189:190], v[41:42], s[10:11], v[253:254]
	v_add_f64 v[21:22], v[189:190], v[21:22]
	v_fma_f64 v[189:190], v[39:40], s[8:9], v[70:71]
	v_fma_f64 v[70:71], v[39:40], s[8:9], -v[70:71]
	s_delay_alu instid0(VALU_DEP_3) | instskip(NEXT) | instid1(VALU_DEP_3)
	v_add_f64 v[2:3], v[2:3], v[21:22]
	v_add_f64 v[23:24], v[189:190], v[23:24]
	v_fma_f64 v[21:22], v[27:28], s[18:19], v[6:7]
	s_delay_alu instid0(VALU_DEP_1) | instskip(SKIP_1) | instid1(VALU_DEP_1)
	v_add_f64 v[21:22], v[21:22], v[23:24]
	v_fma_f64 v[23:24], v[25:26], s[34:35], v[8:9]
	v_add_f64 v[2:3], v[23:24], v[2:3]
	v_fma_f64 v[23:24], v[31:32], s[24:25], v[10:11]
	s_delay_alu instid0(VALU_DEP_1) | instskip(SKIP_1) | instid1(VALU_DEP_1)
	v_add_f64 v[21:22], v[23:24], v[21:22]
	v_fma_f64 v[23:24], v[29:30], s[6:7], v[12:13]
	v_add_f64 v[2:3], v[23:24], v[2:3]
	v_mul_f64 v[23:24], v[132:133], s[40:41]
	s_delay_alu instid0(VALU_DEP_2) | instskip(NEXT) | instid1(VALU_DEP_2)
	v_add_f64 v[51:52], v[18:19], v[2:3]
	v_fma_f64 v[14:15], v[33:34], s[4:5], v[23:24]
	v_mul_f64 v[2:3], v[128:129], s[36:37]
	s_delay_alu instid0(VALU_DEP_2) | instskip(NEXT) | instid1(VALU_DEP_2)
	v_add_f64 v[14:15], v[14:15], v[21:22]
	v_fma_f64 v[18:19], v[72:73], s[20:21], v[2:3]
	v_fma_f64 v[20:21], v[43:44], s[4:5], v[0:1]
	v_fma_f64 v[0:1], v[43:44], s[4:5], -v[0:1]
	v_fma_f64 v[2:3], v[72:73], s[20:21], -v[2:3]
	s_delay_alu instid0(VALU_DEP_4) | instskip(SKIP_1) | instid1(VALU_DEP_1)
	v_add_f64 v[53:54], v[18:19], v[14:15]
	v_mul_f64 v[14:15], v[180:181], s[14:15]
	v_fma_f64 v[18:19], v[49:50], s[46:47], v[14:15]
	v_fma_f64 v[14:15], v[49:50], s[28:29], v[14:15]
	s_delay_alu instid0(VALU_DEP_2) | instskip(SKIP_1) | instid1(VALU_DEP_3)
	v_add_f64 v[18:19], v[18:19], v[193:194]
	v_mul_f64 v[193:194], v[178:179], s[28:29]
	v_add_f64 v[14:15], v[14:15], v[197:198]
	s_delay_alu instid0(VALU_DEP_2) | instskip(NEXT) | instid1(VALU_DEP_1)
	v_fma_f64 v[189:190], v[47:48], s[14:15], v[193:194]
	v_add_f64 v[189:190], v[189:190], v[195:196]
	v_mul_f64 v[195:196], v[174:175], s[4:5]
	s_delay_alu instid0(VALU_DEP_2) | instskip(NEXT) | instid1(VALU_DEP_2)
	v_add_f64 v[20:21], v[20:21], v[189:190]
	v_fma_f64 v[191:192], v[45:46], s[6:7], v[195:196]
	v_mul_f64 v[188:189], v[152:153], s[16:17]
	s_delay_alu instid0(VALU_DEP_2) | instskip(NEXT) | instid1(VALU_DEP_2)
	v_add_f64 v[18:19], v[191:192], v[18:19]
	v_fma_f64 v[190:191], v[41:42], s[30:31], v[188:189]
	s_delay_alu instid0(VALU_DEP_1) | instskip(SKIP_1) | instid1(VALU_DEP_1)
	v_add_f64 v[18:19], v[190:191], v[18:19]
	v_mul_f64 v[190:191], v[148:149], s[42:43]
	v_fma_f64 v[98:99], v[39:40], s[16:17], v[190:191]
	s_delay_alu instid0(VALU_DEP_1) | instskip(SKIP_1) | instid1(VALU_DEP_1)
	v_add_f64 v[20:21], v[98:99], v[20:21]
	v_mul_f64 v[98:99], v[142:143], s[24:25]
	;; [unrolled: 4-line block ×7, first 2 shown]
	v_fma_f64 v[213:214], v[33:34], s[18:19], v[76:77]
	v_fma_f64 v[76:77], v[33:34], s[18:19], -v[76:77]
	s_delay_alu instid0(VALU_DEP_2) | instskip(SKIP_1) | instid1(VALU_DEP_1)
	v_add_f64 v[20:21], v[213:214], v[20:21]
	v_mul_f64 v[213:214], v[130:131], s[8:9]
	v_fma_f64 v[78:79], v[37:38], s[44:45], v[213:214]
	s_delay_alu instid0(VALU_DEP_1) | instskip(SKIP_1) | instid1(VALU_DEP_1)
	v_add_f64 v[18:19], v[78:79], v[18:19]
	v_mul_f64 v[78:79], v[128:129], s[10:11]
	v_fma_f64 v[80:81], v[72:73], s[8:9], v[78:79]
	v_fma_f64 v[78:79], v[72:73], s[8:9], -v[78:79]
	s_delay_alu instid0(VALU_DEP_2) | instskip(SKIP_2) | instid1(VALU_DEP_2)
	v_add_f64 v[20:21], v[80:81], v[20:21]
	v_fma_f64 v[80:81], v[47:48], s[14:15], -v[193:194]
	v_fma_f64 v[192:193], v[45:46], s[40:41], v[195:196]
	v_add_f64 v[80:81], v[80:81], v[199:200]
	s_delay_alu instid0(VALU_DEP_2) | instskip(NEXT) | instid1(VALU_DEP_2)
	v_add_f64 v[14:15], v[192:193], v[14:15]
	v_add_f64 v[0:1], v[0:1], v[80:81]
	v_fma_f64 v[80:81], v[41:42], s[42:43], v[188:189]
	s_delay_alu instid0(VALU_DEP_1) | instskip(SKIP_1) | instid1(VALU_DEP_1)
	v_add_f64 v[14:15], v[80:81], v[14:15]
	v_fma_f64 v[80:81], v[39:40], s[16:17], -v[190:191]
	v_add_f64 v[0:1], v[80:81], v[0:1]
	v_fma_f64 v[80:81], v[35:36], s[54:55], v[98:99]
	s_delay_alu instid0(VALU_DEP_1) | instskip(SKIP_1) | instid1(VALU_DEP_1)
	v_add_f64 v[14:15], v[80:81], v[14:15]
	v_fma_f64 v[80:81], v[27:28], s[24:25], -v[96:97]
	v_add_f64 v[0:1], v[80:81], v[0:1]
	v_fma_f64 v[80:81], v[25:26], s[26:27], v[94:95]
	s_delay_alu instid0(VALU_DEP_1) | instskip(SKIP_2) | instid1(VALU_DEP_2)
	v_add_f64 v[14:15], v[80:81], v[14:15]
	v_fma_f64 v[80:81], v[31:32], s[22:23], -v[215:216]
	v_mul_f64 v[215:216], v[130:131], s[14:15]
	v_add_f64 v[0:1], v[80:81], v[0:1]
	v_fma_f64 v[80:81], v[29:30], s[38:39], v[92:93]
	s_delay_alu instid0(VALU_DEP_2) | instskip(NEXT) | instid1(VALU_DEP_2)
	v_add_f64 v[0:1], v[76:77], v[0:1]
	v_add_f64 v[14:15], v[80:81], v[14:15]
	v_fma_f64 v[76:77], v[37:38], s[10:11], v[213:214]
	v_mul_f64 v[80:81], v[174:175], s[24:25]
	v_mul_f64 v[213:214], v[132:133], s[48:49]
	;; [unrolled: 1-line block ×3, first 2 shown]
	v_add_f64 v[195:196], v[78:79], v[0:1]
	v_mul_f64 v[0:1], v[180:181], s[8:9]
	v_add_f64 v[193:194], v[76:77], v[14:15]
	v_mul_f64 v[76:77], v[178:179], s[10:11]
	v_fma_f64 v[92:93], v[45:46], s[54:55], v[80:81]
	s_delay_alu instid0(VALU_DEP_4) | instskip(SKIP_1) | instid1(VALU_DEP_4)
	v_fma_f64 v[14:15], v[49:50], s[44:45], v[0:1]
	v_fma_f64 v[0:1], v[49:50], s[10:11], v[0:1]
	;; [unrolled: 1-line block ×3, first 2 shown]
	v_fma_f64 v[76:77], v[47:48], s[8:9], -v[76:77]
	s_delay_alu instid0(VALU_DEP_4) | instskip(SKIP_1) | instid1(VALU_DEP_4)
	v_add_f64 v[14:15], v[14:15], v[201:202]
	v_mul_f64 v[201:202], v[136:137], s[38:39]
	v_add_f64 v[78:79], v[78:79], v[203:204]
	v_mul_f64 v[203:204], v[134:135], s[22:23]
	v_add_f64 v[0:1], v[0:1], v[205:206]
	v_add_f64 v[76:77], v[76:77], v[207:208]
	v_mul_f64 v[136:137], v[136:137], s[10:11]
	v_mul_f64 v[134:135], v[134:135], s[14:15]
	v_add_f64 v[14:15], v[92:93], v[14:15]
	v_mul_f64 v[92:93], v[172:173], s[34:35]
	s_delay_alu instid0(VALU_DEP_1) | instskip(NEXT) | instid1(VALU_DEP_1)
	v_fma_f64 v[94:95], v[43:44], s[24:25], v[92:93]
	v_add_f64 v[78:79], v[94:95], v[78:79]
	v_mul_f64 v[94:95], v[152:153], s[20:21]
	s_delay_alu instid0(VALU_DEP_1) | instskip(NEXT) | instid1(VALU_DEP_1)
	v_fma_f64 v[96:97], v[41:42], s[36:37], v[94:95]
	v_add_f64 v[14:15], v[96:97], v[14:15]
	v_mul_f64 v[96:97], v[148:149], s[52:53]
	s_delay_alu instid0(VALU_DEP_1) | instskip(NEXT) | instid1(VALU_DEP_1)
	v_fma_f64 v[98:99], v[39:40], s[20:21], v[96:97]
	v_add_f64 v[78:79], v[98:99], v[78:79]
	v_mul_f64 v[98:99], v[142:143], s[4:5]
	s_delay_alu instid0(VALU_DEP_1) | instskip(NEXT) | instid1(VALU_DEP_1)
	v_fma_f64 v[188:189], v[35:36], s[6:7], v[98:99]
	v_add_f64 v[14:15], v[188:189], v[14:15]
	v_mul_f64 v[188:189], v[140:141], s[40:41]
	v_mul_f64 v[140:141], v[140:141], s[36:37]
	s_delay_alu instid0(VALU_DEP_2) | instskip(NEXT) | instid1(VALU_DEP_1)
	v_fma_f64 v[190:191], v[27:28], s[4:5], v[188:189]
	v_add_f64 v[78:79], v[190:191], v[78:79]
	v_mul_f64 v[190:191], v[138:139], s[18:19]
	v_mul_f64 v[138:139], v[138:139], s[8:9]
	s_delay_alu instid0(VALU_DEP_2) | instskip(NEXT) | instid1(VALU_DEP_1)
	v_fma_f64 v[197:198], v[25:26], s[50:51], v[190:191]
	v_add_f64 v[14:15], v[197:198], v[14:15]
	v_fma_f64 v[197:198], v[31:32], s[18:19], v[201:202]
	s_delay_alu instid0(VALU_DEP_1) | instskip(SKIP_1) | instid1(VALU_DEP_1)
	v_add_f64 v[78:79], v[197:198], v[78:79]
	v_fma_f64 v[197:198], v[29:30], s[26:27], v[203:204]
	v_add_f64 v[14:15], v[197:198], v[14:15]
	v_fma_f64 v[197:198], v[33:34], s[22:23], v[213:214]
	s_delay_alu instid0(VALU_DEP_1) | instskip(SKIP_1) | instid1(VALU_DEP_1)
	v_add_f64 v[78:79], v[197:198], v[78:79]
	v_fma_f64 v[197:198], v[37:38], s[28:29], v[215:216]
	v_add_f64 v[197:198], v[197:198], v[14:15]
	v_mul_f64 v[14:15], v[128:129], s[46:47]
	s_delay_alu instid0(VALU_DEP_1) | instskip(SKIP_1) | instid1(VALU_DEP_2)
	v_fma_f64 v[199:200], v[72:73], s[14:15], v[14:15]
	v_fma_f64 v[14:15], v[72:73], s[14:15], -v[14:15]
	v_add_f64 v[199:200], v[199:200], v[78:79]
	v_fma_f64 v[78:79], v[45:46], s[34:35], v[80:81]
	v_mul_f64 v[80:81], v[174:175], s[16:17]
	s_delay_alu instid0(VALU_DEP_2) | instskip(SKIP_1) | instid1(VALU_DEP_3)
	v_add_f64 v[0:1], v[78:79], v[0:1]
	v_fma_f64 v[78:79], v[43:44], s[24:25], -v[92:93]
	v_fma_f64 v[92:93], v[45:46], s[30:31], v[80:81]
	s_delay_alu instid0(VALU_DEP_2) | instskip(SKIP_1) | instid1(VALU_DEP_1)
	v_add_f64 v[76:77], v[78:79], v[76:77]
	v_fma_f64 v[78:79], v[41:42], s[52:53], v[94:95]
	v_add_f64 v[0:1], v[78:79], v[0:1]
	v_fma_f64 v[78:79], v[39:40], s[20:21], -v[96:97]
	s_delay_alu instid0(VALU_DEP_1) | instskip(SKIP_1) | instid1(VALU_DEP_1)
	v_add_f64 v[76:77], v[78:79], v[76:77]
	v_fma_f64 v[78:79], v[35:36], s[40:41], v[98:99]
	v_add_f64 v[0:1], v[78:79], v[0:1]
	v_fma_f64 v[78:79], v[27:28], s[4:5], -v[188:189]
	s_delay_alu instid0(VALU_DEP_1) | instskip(SKIP_1) | instid1(VALU_DEP_1)
	;; [unrolled: 5-line block ×3, first 2 shown]
	v_add_f64 v[76:77], v[78:79], v[76:77]
	v_fma_f64 v[78:79], v[29:30], s[48:49], v[203:204]
	v_add_f64 v[0:1], v[78:79], v[0:1]
	v_fma_f64 v[78:79], v[33:34], s[22:23], -v[213:214]
	s_delay_alu instid0(VALU_DEP_1) | instskip(SKIP_1) | instid1(VALU_DEP_2)
	v_add_f64 v[76:77], v[78:79], v[76:77]
	v_fma_f64 v[78:79], v[37:38], s[46:47], v[215:216]
	v_add_f64 v[203:204], v[14:15], v[76:77]
	s_delay_alu instid0(VALU_DEP_2) | instskip(SKIP_2) | instid1(VALU_DEP_2)
	v_add_f64 v[201:202], v[78:79], v[0:1]
	v_mul_f64 v[0:1], v[180:181], s[4:5]
	v_mul_f64 v[76:77], v[178:179], s[6:7]
	v_fma_f64 v[14:15], v[49:50], s[40:41], v[0:1]
	s_delay_alu instid0(VALU_DEP_2) | instskip(SKIP_1) | instid1(VALU_DEP_3)
	v_fma_f64 v[78:79], v[47:48], s[4:5], v[76:77]
	v_fma_f64 v[0:1], v[49:50], s[6:7], v[0:1]
	v_add_f64 v[14:15], v[14:15], v[209:210]
	s_delay_alu instid0(VALU_DEP_3) | instskip(NEXT) | instid1(VALU_DEP_2)
	v_add_f64 v[78:79], v[78:79], v[211:212]
	v_add_f64 v[14:15], v[92:93], v[14:15]
	v_mul_f64 v[92:93], v[172:173], s[42:43]
	s_delay_alu instid0(VALU_DEP_1) | instskip(NEXT) | instid1(VALU_DEP_1)
	v_fma_f64 v[94:95], v[43:44], s[16:17], v[92:93]
	v_add_f64 v[78:79], v[94:95], v[78:79]
	v_mul_f64 v[94:95], v[152:153], s[22:23]
	s_delay_alu instid0(VALU_DEP_1) | instskip(NEXT) | instid1(VALU_DEP_1)
	v_fma_f64 v[96:97], v[41:42], s[26:27], v[94:95]
	v_add_f64 v[14:15], v[96:97], v[14:15]
	v_mul_f64 v[96:97], v[148:149], s[48:49]
	v_mul_f64 v[148:149], v[128:129], s[54:55]
	s_delay_alu instid0(VALU_DEP_2) | instskip(NEXT) | instid1(VALU_DEP_1)
	v_fma_f64 v[98:99], v[39:40], s[22:23], v[96:97]
	v_add_f64 v[78:79], v[98:99], v[78:79]
	v_mul_f64 v[98:99], v[142:143], s[20:21]
	s_delay_alu instid0(VALU_DEP_1) | instskip(NEXT) | instid1(VALU_DEP_1)
	v_fma_f64 v[142:143], v[35:36], s[52:53], v[98:99]
	v_add_f64 v[14:15], v[142:143], v[14:15]
	v_fma_f64 v[142:143], v[27:28], s[20:21], v[140:141]
	s_delay_alu instid0(VALU_DEP_1) | instskip(SKIP_1) | instid1(VALU_DEP_1)
	v_add_f64 v[78:79], v[142:143], v[78:79]
	v_fma_f64 v[142:143], v[25:26], s[44:45], v[138:139]
	v_add_f64 v[14:15], v[142:143], v[14:15]
	v_fma_f64 v[142:143], v[31:32], s[8:9], v[136:137]
	s_delay_alu instid0(VALU_DEP_1) | instskip(SKIP_1) | instid1(VALU_DEP_1)
	v_add_f64 v[78:79], v[142:143], v[78:79]
	;; [unrolled: 5-line block ×3, first 2 shown]
	v_mul_f64 v[142:143], v[130:131], s[24:25]
	v_fma_f64 v[128:129], v[37:38], s[34:35], v[142:143]
	s_delay_alu instid0(VALU_DEP_1) | instskip(SKIP_1) | instid1(VALU_DEP_1)
	v_add_f64 v[128:129], v[128:129], v[14:15]
	v_fma_f64 v[14:15], v[72:73], s[24:25], v[148:149]
	v_add_f64 v[130:131], v[14:15], v[78:79]
	scratch_load_b64 v[14:15], off, off offset:212 ; 8-byte Folded Reload
	v_fma_f64 v[78:79], v[72:73], s[24:25], -v[148:149]
	s_waitcnt vmcnt(0)
	v_add_f64 v[0:1], v[0:1], v[14:15]
	v_fma_f64 v[14:15], v[47:48], s[4:5], -v[76:77]
	scratch_load_b64 v[76:77], off, off offset:204 ; 8-byte Folded Reload
	s_waitcnt vmcnt(0)
	v_add_f64 v[14:15], v[14:15], v[76:77]
	v_fma_f64 v[76:77], v[45:46], s[42:43], v[80:81]
	s_delay_alu instid0(VALU_DEP_1) | instskip(SKIP_1) | instid1(VALU_DEP_1)
	v_add_f64 v[0:1], v[76:77], v[0:1]
	v_fma_f64 v[76:77], v[43:44], s[16:17], -v[92:93]
	v_add_f64 v[14:15], v[76:77], v[14:15]
	v_fma_f64 v[76:77], v[41:42], s[48:49], v[94:95]
	s_delay_alu instid0(VALU_DEP_1) | instskip(SKIP_1) | instid1(VALU_DEP_1)
	v_add_f64 v[0:1], v[76:77], v[0:1]
	v_fma_f64 v[76:77], v[39:40], s[22:23], -v[96:97]
	;; [unrolled: 5-line block ×5, first 2 shown]
	v_add_f64 v[14:15], v[76:77], v[14:15]
	v_fma_f64 v[76:77], v[37:38], s[54:55], v[142:143]
	s_delay_alu instid0(VALU_DEP_2)
	v_add_f64 v[134:135], v[78:79], v[14:15]
	scratch_load_b64 v[14:15], off, off offset:196 ; 8-byte Folded Reload
	v_add_f64 v[132:133], v[76:77], v[0:1]
	scratch_load_b64 v[76:77], off, off offset:188 ; 8-byte Folded Reload
	v_fma_f64 v[0:1], v[49:50], s[30:31], v[245:246]
	s_waitcnt vmcnt(1)
	s_delay_alu instid0(VALU_DEP_1) | instskip(SKIP_2) | instid1(VALU_DEP_1)
	v_add_f64 v[0:1], v[0:1], v[14:15]
	v_fma_f64 v[14:15], v[47:48], s[16:17], -v[247:248]
	s_waitcnt vmcnt(0)
	v_add_f64 v[14:15], v[14:15], v[76:77]
	v_fma_f64 v[76:77], v[45:46], s[48:49], v[249:250]
	s_delay_alu instid0(VALU_DEP_1) | instskip(SKIP_1) | instid1(VALU_DEP_1)
	v_add_f64 v[0:1], v[76:77], v[0:1]
	v_fma_f64 v[76:77], v[43:44], s[22:23], -v[251:252]
	v_add_f64 v[14:15], v[76:77], v[14:15]
	v_fma_f64 v[76:77], v[41:42], s[44:45], v[253:254]
	s_delay_alu instid0(VALU_DEP_2) | instskip(NEXT) | instid1(VALU_DEP_2)
	v_add_f64 v[14:15], v[70:71], v[14:15]
	v_add_f64 v[0:1], v[76:77], v[0:1]
	s_delay_alu instid0(VALU_DEP_1) | instskip(SKIP_2) | instid1(VALU_DEP_2)
	v_add_f64 v[0:1], v[4:5], v[0:1]
	v_fma_f64 v[4:5], v[27:28], s[18:19], -v[6:7]
	v_fma_f64 v[6:7], v[25:26], s[54:55], v[8:9]
	v_add_f64 v[4:5], v[4:5], v[14:15]
	s_delay_alu instid0(VALU_DEP_2) | instskip(SKIP_1) | instid1(VALU_DEP_1)
	v_add_f64 v[0:1], v[6:7], v[0:1]
	v_fma_f64 v[6:7], v[31:32], s[24:25], -v[10:11]
	v_add_f64 v[4:5], v[6:7], v[4:5]
	v_fma_f64 v[6:7], v[29:30], s[40:41], v[12:13]
	s_delay_alu instid0(VALU_DEP_1) | instskip(SKIP_1) | instid1(VALU_DEP_1)
	v_add_f64 v[0:1], v[6:7], v[0:1]
	v_fma_f64 v[6:7], v[33:34], s[4:5], -v[23:24]
	v_add_f64 v[4:5], v[6:7], v[4:5]
	v_fma_f64 v[6:7], v[37:38], s[36:37], v[16:17]
	s_delay_alu instid0(VALU_DEP_2)
	v_add_f64 v[138:139], v[2:3], v[4:5]
	s_clause 0x1
	scratch_load_b64 v[2:3], off, off offset:180
	scratch_load_b64 v[4:5], off, off offset:172
	v_add_f64 v[136:137], v[6:7], v[0:1]
	v_fma_f64 v[0:1], v[49:50], s[38:39], v[217:218]
	v_fma_f64 v[6:7], v[72:73], s[22:23], -v[243:244]
	s_waitcnt vmcnt(1)
	s_delay_alu instid0(VALU_DEP_2) | instskip(SKIP_2) | instid1(VALU_DEP_1)
	v_add_f64 v[0:1], v[0:1], v[2:3]
	v_fma_f64 v[2:3], v[47:48], s[18:19], -v[219:220]
	s_waitcnt vmcnt(0)
	v_add_f64 v[2:3], v[2:3], v[4:5]
	v_fma_f64 v[4:5], v[45:46], s[28:29], v[221:222]
	s_delay_alu instid0(VALU_DEP_1) | instskip(SKIP_1) | instid1(VALU_DEP_1)
	v_add_f64 v[0:1], v[4:5], v[0:1]
	v_fma_f64 v[4:5], v[43:44], s[14:15], -v[223:224]
	v_add_f64 v[2:3], v[4:5], v[2:3]
	v_fma_f64 v[4:5], v[41:42], s[6:7], v[225:226]
	s_delay_alu instid0(VALU_DEP_1) | instskip(SKIP_1) | instid1(VALU_DEP_1)
	v_add_f64 v[0:1], v[4:5], v[0:1]
	v_fma_f64 v[4:5], v[39:40], s[4:5], -v[227:228]
	;; [unrolled: 5-line block ×5, first 2 shown]
	v_add_f64 v[2:3], v[4:5], v[2:3]
	v_fma_f64 v[4:5], v[37:38], s[48:49], v[241:242]
	s_delay_alu instid0(VALU_DEP_2)
	v_add_f64 v[98:99], v[6:7], v[2:3]
	scratch_load_b64 v[2:3], off, off offset:164 ; 8-byte Folded Reload
	v_add_f64 v[96:97], v[4:5], v[0:1]
	scratch_load_b64 v[4:5], off, off offset:156 ; 8-byte Folded Reload
	v_fma_f64 v[0:1], v[49:50], s[36:37], v[144:145]
	v_fma_f64 v[6:7], v[72:73], s[16:17], -v[182:183]
	s_waitcnt vmcnt(1)
	s_delay_alu instid0(VALU_DEP_2) | instskip(SKIP_2) | instid1(VALU_DEP_1)
	v_add_f64 v[0:1], v[0:1], v[2:3]
	v_fma_f64 v[2:3], v[47:48], s[20:21], -v[146:147]
	s_waitcnt vmcnt(0)
	v_add_f64 v[2:3], v[2:3], v[4:5]
	v_fma_f64 v[4:5], v[45:46], s[50:51], v[150:151]
	s_delay_alu instid0(VALU_DEP_1) | instskip(SKIP_1) | instid1(VALU_DEP_1)
	v_add_f64 v[0:1], v[4:5], v[0:1]
	v_fma_f64 v[4:5], v[43:44], s[18:19], -v[67:68]
	v_add_f64 v[2:3], v[4:5], v[2:3]
	v_fma_f64 v[4:5], v[41:42], s[28:29], v[74:75]
	s_delay_alu instid0(VALU_DEP_1) | instskip(SKIP_1) | instid1(VALU_DEP_1)
	v_add_f64 v[0:1], v[4:5], v[0:1]
	v_fma_f64 v[4:5], v[39:40], s[14:15], -v[158:159]
	;; [unrolled: 5-line block ×5, first 2 shown]
	v_add_f64 v[2:3], v[4:5], v[2:3]
	v_fma_f64 v[4:5], v[37:38], s[42:43], v[176:177]
	s_delay_alu instid0(VALU_DEP_2)
	v_add_f64 v[94:95], v[6:7], v[2:3]
	scratch_load_b64 v[2:3], off, off offset:60 ; 8-byte Folded Reload
	v_add_f64 v[92:93], v[4:5], v[0:1]
	scratch_load_b64 v[4:5], off, off offset:44 ; 8-byte Folded Reload
	v_fma_f64 v[0:1], v[49:50], s[34:35], v[100:101]
	v_fma_f64 v[6:7], v[72:73], s[4:5], -v[126:127]
	s_waitcnt vmcnt(1)
	s_delay_alu instid0(VALU_DEP_2) | instskip(SKIP_2) | instid1(VALU_DEP_1)
	v_add_f64 v[0:1], v[0:1], v[2:3]
	v_fma_f64 v[2:3], v[47:48], s[24:25], -v[102:103]
	s_waitcnt vmcnt(0)
	v_add_f64 v[2:3], v[2:3], v[4:5]
	v_fma_f64 v[4:5], v[45:46], s[36:37], v[104:105]
	s_delay_alu instid0(VALU_DEP_1) | instskip(SKIP_1) | instid1(VALU_DEP_1)
	v_add_f64 v[0:1], v[4:5], v[0:1]
	v_fma_f64 v[4:5], v[43:44], s[20:21], -v[106:107]
	v_add_f64 v[2:3], v[4:5], v[2:3]
	v_fma_f64 v[4:5], v[41:42], s[38:39], v[108:109]
	s_delay_alu instid0(VALU_DEP_1) | instskip(SKIP_1) | instid1(VALU_DEP_1)
	v_add_f64 v[0:1], v[4:5], v[0:1]
	v_fma_f64 v[4:5], v[39:40], s[18:19], -v[110:111]
	;; [unrolled: 5-line block ×5, first 2 shown]
	v_add_f64 v[2:3], v[4:5], v[2:3]
	v_fma_f64 v[4:5], v[37:38], s[6:7], v[124:125]
	s_delay_alu instid0(VALU_DEP_2) | instskip(NEXT) | instid1(VALU_DEP_2)
	v_add_f64 v[102:103], v[6:7], v[2:3]
	v_add_f64 v[100:101], v[4:5], v[0:1]
	s_clause 0x3
	scratch_load_b64 v[0:1], off, off offset:76
	scratch_load_b64 v[6:7], off, off offset:108
	;; [unrolled: 1-line block ×4, first 2 shown]
	s_waitcnt vmcnt(3)
	v_fma_f64 v[0:1], v[49:50], s[26:27], v[0:1]
	s_waitcnt vmcnt(2)
	v_fma_f64 v[6:7], v[43:44], s[8:9], -v[6:7]
	s_waitcnt vmcnt(1)
	s_delay_alu instid0(VALU_DEP_2) | instskip(SKIP_4) | instid1(VALU_DEP_1)
	v_add_f64 v[0:1], v[0:1], v[4:5]
	scratch_load_b64 v[4:5], off, off offset:28 ; 8-byte Folded Reload
	s_waitcnt vmcnt(1)
	v_fma_f64 v[2:3], v[47:48], s[22:23], -v[2:3]
	s_waitcnt vmcnt(0)
	v_add_f64 v[2:3], v[2:3], v[4:5]
	scratch_load_b64 v[4:5], off, off offset:100 ; 8-byte Folded Reload
	v_add_f64 v[2:3], v[6:7], v[2:3]
	scratch_load_b64 v[6:7], off, off offset:124 ; 8-byte Folded Reload
	s_waitcnt vmcnt(1)
	v_fma_f64 v[4:5], v[45:46], s[44:45], v[4:5]
	s_delay_alu instid0(VALU_DEP_1) | instskip(SKIP_3) | instid1(VALU_DEP_1)
	v_add_f64 v[0:1], v[4:5], v[0:1]
	scratch_load_b64 v[4:5], off, off offset:116 ; 8-byte Folded Reload
	s_waitcnt vmcnt(1)
	v_fma_f64 v[6:7], v[39:40], s[24:25], -v[6:7]
	v_add_f64 v[2:3], v[6:7], v[2:3]
	scratch_load_b64 v[6:7], off, off offset:140 ; 8-byte Folded Reload
	s_waitcnt vmcnt(1)
	v_fma_f64 v[4:5], v[41:42], s[34:35], v[4:5]
	s_delay_alu instid0(VALU_DEP_1) | instskip(SKIP_3) | instid1(VALU_DEP_1)
	v_add_f64 v[0:1], v[4:5], v[0:1]
	scratch_load_b64 v[4:5], off, off offset:132 ; 8-byte Folded Reload
	s_waitcnt vmcnt(1)
	v_fma_f64 v[6:7], v[27:28], s[14:15], -v[6:7]
	v_add_f64 v[2:3], v[6:7], v[2:3]
	v_fma_f64 v[6:7], v[31:32], s[20:21], -v[82:83]
	s_delay_alu instid0(VALU_DEP_1) | instskip(SKIP_1) | instid1(VALU_DEP_1)
	v_add_f64 v[2:3], v[6:7], v[2:3]
	v_fma_f64 v[6:7], v[33:34], s[16:17], -v[86:87]
	v_add_f64 v[2:3], v[6:7], v[2:3]
	v_fma_f64 v[6:7], v[72:73], s[18:19], -v[90:91]
	s_waitcnt vmcnt(0)
	v_fma_f64 v[4:5], v[35:36], s[46:47], v[4:5]
	s_delay_alu instid0(VALU_DEP_1) | instskip(SKIP_4) | instid1(VALU_DEP_2)
	v_add_f64 v[0:1], v[4:5], v[0:1]
	scratch_load_b64 v[4:5], off, off offset:148 ; 8-byte Folded Reload
	s_waitcnt vmcnt(0)
	v_fma_f64 v[4:5], v[25:26], s[36:37], v[4:5]
	v_lshlrev_b32_e32 v25, 4, v255
	v_add_f64 v[0:1], v[4:5], v[0:1]
	v_fma_f64 v[4:5], v[29:30], s[42:43], v[84:85]
	v_add_f64 v[28:29], v[6:7], v[2:3]
	s_delay_alu instid0(VALU_DEP_2) | instskip(SKIP_1) | instid1(VALU_DEP_1)
	v_add_f64 v[0:1], v[4:5], v[0:1]
	v_fma_f64 v[4:5], v[37:38], s[38:39], v[88:89]
	v_add_f64 v[26:27], v[4:5], v[0:1]
	v_mul_u32_u24_e32 v0, 0x770, v69
	s_delay_alu instid0(VALU_DEP_1)
	v_add3_u32 v0, 0, v0, v25
	ds_store_b128 v0, v[184:187]
	ds_store_b128 v0, v[63:66] offset:112
	ds_store_b128 v0, v[154:157] offset:224
	ds_store_b128 v0, v[59:62] offset:336
	ds_store_b128 v0, v[55:58] offset:448
	ds_store_b128 v0, v[51:54] offset:560
	ds_store_b128 v0, v[18:21] offset:672
	ds_store_b128 v0, v[197:200] offset:784
	ds_store_b128 v0, v[128:131] offset:896
	ds_store_b128 v0, v[132:135] offset:1008
	ds_store_b128 v0, v[201:204] offset:1120
	ds_store_b128 v0, v[193:196] offset:1232
	ds_store_b128 v0, v[136:139] offset:1344
	ds_store_b128 v0, v[96:99] offset:1456
	ds_store_b128 v0, v[92:95] offset:1568
	ds_store_b128 v0, v[100:103] offset:1680
	ds_store_b128 v0, v[26:29] offset:1792
	s_waitcnt lgkmcnt(0)
	s_waitcnt_vscnt null, 0x0
	s_barrier
	buffer_gl0_inv
	s_and_saveexec_b32 s56, s33
	s_cbranch_execz .LBB0_50
; %bb.49:
	v_mul_hi_u32 v0, 0xf0f0f10, v69
	s_add_i32 s33, 0, 0x7e70
	s_delay_alu instid0(VALU_DEP_1) | instskip(NEXT) | instid1(VALU_DEP_1)
	v_mul_u32_u24_e32 v0, 17, v0
	v_sub_nc_u32_e32 v3, v69, v0
	scratch_load_b64 v[0:1], off, off offset:220 ; 8-byte Folded Reload
	v_mov_b32_e32 v59, v3
	s_waitcnt vmcnt(0)
	v_dual_mov_b32 v1, v0 :: v_dual_add_nc_u32 v0, 0x110, v3
	s_delay_alu instid0(VALU_DEP_1) | instskip(NEXT) | instid1(VALU_DEP_2)
	v_mul_lo_u32 v2, v3, v1
	v_mul_lo_u32 v3, v0, v1
	;; [unrolled: 1-line block ×3, first 2 shown]
	s_delay_alu instid0(VALU_DEP_3) | instskip(NEXT) | instid1(VALU_DEP_3)
	v_lshrrev_b32_e32 v0, 1, v2
	v_lshrrev_b32_e32 v5, 1, v3
	v_and_b32_e32 v6, 31, v2
	v_and_b32_e32 v4, 31, v3
	v_add_nc_u32_e32 v9, v3, v1
	v_and_b32_e32 v0, 0x1f0, v0
	v_and_b32_e32 v5, 0x1f0, v5
	v_lshl_add_u32 v6, v6, 4, 0
	v_lshrrev_b32_e32 v3, 6, v3
	scratch_store_b32 off, v59, off offset:92 ; 4-byte Folded Spill
	v_add_nc_u32_e32 v7, s33, v0
	v_lshrrev_b32_e32 v0, 6, v2
	v_lshl_add_u32 v2, v4, 4, 0
	v_add_nc_u32_e32 v8, s33, v5
	v_and_b32_e32 v3, 0x1f0, v3
	ds_load_b128 v[11:14], v7 offset:512
	ds_load_b128 v[4:7], v6 offset:32368
	;; [unrolled: 1-line block ×4, first 2 shown]
	v_and_b32_e32 v0, 0x1f0, v0
	v_lshrrev_b32_e32 v2, 1, v9
	v_add_nc_u32_e32 v3, s33, v3
	v_lshrrev_b32_e32 v10, 6, v9
	v_and_b32_e32 v8, 31, v9
	v_add_nc_u32_e32 v0, s33, v0
	v_and_b32_e32 v2, 0x1f0, v2
	ds_load_b128 v[30:33], v3 offset:1024
	v_add_nc_u32_e32 v23, v9, v1
	v_and_b32_e32 v9, 0x1f0, v10
	ds_load_b128 v[26:29], v0 offset:1024
	v_add_nc_u32_e32 v0, s33, v2
	v_lshl_add_u32 v10, v8, 4, 0
	v_lshrrev_b32_e32 v52, 6, v23
	v_add_nc_u32_e32 v24, s33, v9
	ds_load_b128 v[34:37], v10 offset:32368
	ds_load_b128 v[38:41], v0 offset:512
	;; [unrolled: 1-line block ×3, first 2 shown]
	s_waitcnt lgkmcnt(7)
	v_mul_f64 v[2:3], v[6:7], v[13:14]
	v_mul_f64 v[8:9], v[4:5], v[13:14]
	s_waitcnt lgkmcnt(5)
	v_mul_f64 v[13:14], v[17:18], v[21:22]
	v_mul_f64 v[50:51], v[15:16], v[21:22]
	v_lshrrev_b32_e32 v0, 1, v23
	v_and_b32_e32 v10, 31, v23
	v_add_nc_u32_e32 v57, v23, v1
	s_delay_alu instid0(VALU_DEP_3) | instskip(NEXT) | instid1(VALU_DEP_3)
	v_and_b32_e32 v0, 0x1f0, v0
	v_lshl_add_u32 v10, v10, 4, 0
	s_delay_alu instid0(VALU_DEP_3) | instskip(NEXT) | instid1(VALU_DEP_3)
	v_lshrrev_b32_e32 v53, 1, v57
	v_add_nc_u32_e32 v0, s33, v0
	ds_load_b128 v[46:49], v10 offset:32368
	v_and_b32_e32 v10, 0x1f0, v52
	v_lshrrev_b32_e32 v52, 6, v57
	s_waitcnt lgkmcnt(2)
	v_mul_f64 v[55:56], v[36:37], v[40:41]
	ds_load_b128 v[21:24], v0 offset:512
	v_and_b32_e32 v53, 0x1f0, v53
	v_add_nc_u32_e32 v10, s33, v10
	v_and_b32_e32 v52, 0x1f0, v52
	v_mul_f64 v[40:41], v[34:35], v[40:41]
	s_delay_alu instid0(VALU_DEP_4)
	v_add_nc_u32_e32 v53, s33, v53
	v_fma_f64 v[96:97], v[4:5], v[11:12], -v[2:3]
	ds_load_b128 v[2:5], v10 offset:1024
	v_and_b32_e32 v0, 31, v57
	v_add_nc_u32_e32 v10, s33, v52
	v_fma_f64 v[136:137], v[15:16], v[19:20], -v[13:14]
	v_fma_f64 v[144:145], v[17:18], v[19:20], v[50:51]
	s_waitcnt lgkmcnt(1)
	v_mul_f64 v[15:16], v[48:49], v[23:24]
	v_lshl_add_u32 v0, v0, 4, 0
	v_mul_f64 v[17:18], v[46:47], v[23:24]
	v_fma_f64 v[128:129], v[11:12], v[6:7], v[8:9]
	ds_load_b128 v[6:9], v0 offset:32368
	ds_load_b128 v[11:14], v53 offset:512
	;; [unrolled: 1-line block ×3, first 2 shown]
	v_add_nc_u32_e32 v0, v57, v1
	v_fma_f64 v[148:149], v[34:35], v[38:39], -v[55:56]
	s_delay_alu instid0(VALU_DEP_2) | instskip(SKIP_1) | instid1(VALU_DEP_2)
	v_lshrrev_b32_e32 v10, 1, v0
	v_fma_f64 v[168:169], v[36:37], v[38:39], v[40:41]
	v_and_b32_e32 v10, 0x1f0, v10
	v_add_nc_u32_e32 v36, v0, v1
	s_delay_alu instid0(VALU_DEP_2)
	v_add_nc_u32_e32 v10, s33, v10
	s_waitcnt lgkmcnt(1)
	v_mul_f64 v[23:24], v[8:9], v[13:14]
	v_mul_f64 v[34:35], v[6:7], v[13:14]
	v_and_b32_e32 v13, 31, v0
	v_lshrrev_b32_e32 v0, 6, v0
	s_delay_alu instid0(VALU_DEP_2) | instskip(NEXT) | instid1(VALU_DEP_2)
	v_lshl_add_u32 v19, v13, 4, 0
	v_and_b32_e32 v0, 0x1f0, v0
	v_fma_f64 v[46:47], v[46:47], v[21:22], -v[15:16]
	s_delay_alu instid0(VALU_DEP_2) | instskip(SKIP_4) | instid1(VALU_DEP_1)
	v_add_nc_u32_e32 v0, s33, v0
	v_fma_f64 v[174:175], v[48:49], v[21:22], v[17:18]
	ds_load_b128 v[13:16], v10 offset:512
	ds_load_b128 v[17:20], v19 offset:32368
	v_lshrrev_b32_e32 v10, 6, v36
	v_and_b32_e32 v10, 0x1f0, v10
	s_delay_alu instid0(VALU_DEP_1)
	v_add_nc_u32_e32 v10, s33, v10
	v_fma_f64 v[178:179], v[6:7], v[11:12], -v[23:24]
	v_fma_f64 v[180:181], v[8:9], v[11:12], v[34:35]
	s_waitcnt lgkmcnt(0)
	v_mul_f64 v[11:12], v[19:20], v[15:16]
	v_mul_f64 v[15:16], v[17:18], v[15:16]
	ds_load_b128 v[6:9], v0 offset:1024
	ds_load_b128 v[21:24], v10 offset:1024
	v_lshrrev_b32_e32 v0, 1, v36
	v_and_b32_e32 v10, 31, v36
	s_delay_alu instid0(VALU_DEP_2) | instskip(NEXT) | instid1(VALU_DEP_2)
	v_and_b32_e32 v0, 0x1f0, v0
	v_lshl_add_u32 v10, v10, 4, 0
	s_delay_alu instid0(VALU_DEP_2)
	v_add_nc_u32_e32 v0, s33, v0
	v_fma_f64 v[186:187], v[17:18], v[13:14], -v[11:12]
	v_fma_f64 v[190:191], v[19:20], v[13:14], v[15:16]
	ds_load_b128 v[11:14], v10 offset:32368
	ds_load_b128 v[15:18], v0 offset:512
	v_add_nc_u32_e32 v0, v36, v1
	s_delay_alu instid0(VALU_DEP_1) | instskip(SKIP_2) | instid1(VALU_DEP_1)
	v_add_nc_u32_e32 v10, v0, v1
	s_waitcnt lgkmcnt(0)
	v_mul_f64 v[19:20], v[13:14], v[17:18]
	v_fma_f64 v[192:193], v[11:12], v[15:16], -v[19:20]
	v_mul_f64 v[11:12], v[11:12], v[17:18]
	s_delay_alu instid0(VALU_DEP_1) | instskip(SKIP_4) | instid1(VALU_DEP_4)
	v_fma_f64 v[194:195], v[13:14], v[15:16], v[11:12]
	v_lshrrev_b32_e32 v11, 1, v0
	v_lshrrev_b32_e32 v12, 6, v0
	;; [unrolled: 1-line block ×3, first 2 shown]
	v_and_b32_e32 v0, 31, v0
	v_and_b32_e32 v11, 0x1f0, v11
	s_delay_alu instid0(VALU_DEP_4) | instskip(NEXT) | instid1(VALU_DEP_4)
	v_and_b32_e32 v12, 0x1f0, v12
	v_and_b32_e32 v13, 0x1f0, v13
	s_delay_alu instid0(VALU_DEP_4) | instskip(NEXT) | instid1(VALU_DEP_4)
	v_lshl_add_u32 v0, v0, 4, 0
	v_add_nc_u32_e32 v11, s33, v11
	s_delay_alu instid0(VALU_DEP_4) | instskip(NEXT) | instid1(VALU_DEP_4)
	v_add_nc_u32_e32 v19, s33, v12
	v_add_nc_u32_e32 v20, s33, v13
	ds_load_b128 v[11:14], v11 offset:512
	ds_load_b128 v[15:18], v0 offset:32368
	;; [unrolled: 1-line block ×4, first 2 shown]
	v_lshrrev_b32_e32 v0, 1, v10
	s_delay_alu instid0(VALU_DEP_1) | instskip(NEXT) | instid1(VALU_DEP_1)
	v_and_b32_e32 v0, 0x1f0, v0
	v_add_nc_u32_e32 v0, s33, v0
	s_waitcnt lgkmcnt(2)
	v_mul_f64 v[19:20], v[17:18], v[13:14]
	v_mul_f64 v[13:14], v[15:16], v[13:14]
	s_delay_alu instid0(VALU_DEP_2) | instskip(NEXT) | instid1(VALU_DEP_2)
	v_fma_f64 v[196:197], v[15:16], v[11:12], -v[19:20]
	v_fma_f64 v[200:201], v[17:18], v[11:12], v[13:14]
	v_and_b32_e32 v11, 31, v10
	s_delay_alu instid0(VALU_DEP_1) | instskip(SKIP_3) | instid1(VALU_DEP_1)
	v_lshl_add_u32 v11, v11, 4, 0
	ds_load_b128 v[11:14], v11 offset:32368
	ds_load_b128 v[15:18], v0 offset:512
	v_add_nc_u32_e32 v0, v10, v1
	v_add_nc_u32_e32 v48, v0, v1
	v_lshrrev_b32_e32 v10, 1, v0
	s_delay_alu instid0(VALU_DEP_1) | instskip(NEXT) | instid1(VALU_DEP_1)
	v_and_b32_e32 v10, 0x1f0, v10
	v_add_nc_u32_e32 v10, s33, v10
	s_waitcnt lgkmcnt(0)
	v_mul_f64 v[19:20], v[13:14], v[17:18]
	s_delay_alu instid0(VALU_DEP_1) | instskip(SKIP_1) | instid1(VALU_DEP_1)
	v_fma_f64 v[202:203], v[11:12], v[15:16], -v[19:20]
	v_mul_f64 v[11:12], v[11:12], v[17:18]
	v_fma_f64 v[204:205], v[13:14], v[15:16], v[11:12]
	v_lshrrev_b32_e32 v11, 6, v0
	v_lshrrev_b32_e32 v12, 6, v48
	v_and_b32_e32 v0, 31, v0
	s_delay_alu instid0(VALU_DEP_3) | instskip(NEXT) | instid1(VALU_DEP_3)
	v_and_b32_e32 v11, 0x1f0, v11
	v_and_b32_e32 v12, 0x1f0, v12
	s_delay_alu instid0(VALU_DEP_3) | instskip(NEXT) | instid1(VALU_DEP_3)
	v_lshl_add_u32 v0, v0, 4, 0
	v_add_nc_u32_e32 v19, s33, v11
	s_delay_alu instid0(VALU_DEP_3)
	v_add_nc_u32_e32 v20, s33, v12
	ds_load_b128 v[11:14], v10 offset:512
	ds_load_b128 v[15:18], v0 offset:32368
	ds_load_b128 v[55:58], v19 offset:1024
	ds_load_b128 v[65:68], v20 offset:1024
	v_lshrrev_b32_e32 v0, 1, v48
	v_and_b32_e32 v10, 31, v48
	s_delay_alu instid0(VALU_DEP_2) | instskip(NEXT) | instid1(VALU_DEP_2)
	v_and_b32_e32 v0, 0x1f0, v0
	v_lshl_add_u32 v10, v10, 4, 0
	s_delay_alu instid0(VALU_DEP_2) | instskip(SKIP_3) | instid1(VALU_DEP_2)
	v_add_nc_u32_e32 v0, s33, v0
	s_waitcnt lgkmcnt(2)
	v_mul_f64 v[19:20], v[17:18], v[13:14]
	v_mul_f64 v[13:14], v[15:16], v[13:14]
	v_fma_f64 v[206:207], v[15:16], v[11:12], -v[19:20]
	s_delay_alu instid0(VALU_DEP_2) | instskip(SKIP_3) | instid1(VALU_DEP_1)
	v_fma_f64 v[208:209], v[17:18], v[11:12], v[13:14]
	ds_load_b128 v[11:14], v10 offset:32368
	ds_load_b128 v[15:18], v0 offset:512
	v_add_nc_u32_e32 v0, v48, v1
	v_add_nc_u32_e32 v48, v0, v1
	v_lshrrev_b32_e32 v10, 1, v0
	s_delay_alu instid0(VALU_DEP_1) | instskip(NEXT) | instid1(VALU_DEP_1)
	v_and_b32_e32 v10, 0x1f0, v10
	v_add_nc_u32_e32 v10, s33, v10
	s_waitcnt lgkmcnt(0)
	v_mul_f64 v[19:20], v[13:14], v[17:18]
	s_delay_alu instid0(VALU_DEP_1) | instskip(SKIP_1) | instid1(VALU_DEP_1)
	v_fma_f64 v[210:211], v[11:12], v[15:16], -v[19:20]
	v_mul_f64 v[11:12], v[11:12], v[17:18]
	v_fma_f64 v[212:213], v[13:14], v[15:16], v[11:12]
	v_lshrrev_b32_e32 v11, 6, v0
	v_lshrrev_b32_e32 v12, 6, v48
	v_and_b32_e32 v0, 31, v0
	s_delay_alu instid0(VALU_DEP_3) | instskip(NEXT) | instid1(VALU_DEP_3)
	v_and_b32_e32 v11, 0x1f0, v11
	v_and_b32_e32 v12, 0x1f0, v12
	s_delay_alu instid0(VALU_DEP_3) | instskip(NEXT) | instid1(VALU_DEP_3)
	v_lshl_add_u32 v0, v0, 4, 0
	v_add_nc_u32_e32 v19, s33, v11
	s_delay_alu instid0(VALU_DEP_3)
	v_add_nc_u32_e32 v20, s33, v12
	ds_load_b128 v[11:14], v10 offset:512
	ds_load_b128 v[15:18], v0 offset:32368
	ds_load_b128 v[80:83], v19 offset:1024
	ds_load_b128 v[84:87], v20 offset:1024
	v_lshrrev_b32_e32 v0, 1, v48
	v_and_b32_e32 v10, 31, v48
	s_delay_alu instid0(VALU_DEP_2) | instskip(NEXT) | instid1(VALU_DEP_2)
	v_and_b32_e32 v0, 0x1f0, v0
	v_lshl_add_u32 v10, v10, 4, 0
	s_delay_alu instid0(VALU_DEP_2) | instskip(SKIP_3) | instid1(VALU_DEP_2)
	v_add_nc_u32_e32 v0, s33, v0
	s_waitcnt lgkmcnt(2)
	v_mul_f64 v[19:20], v[17:18], v[13:14]
	v_mul_f64 v[13:14], v[15:16], v[13:14]
	v_fma_f64 v[214:215], v[15:16], v[11:12], -v[19:20]
	s_delay_alu instid0(VALU_DEP_2) | instskip(SKIP_3) | instid1(VALU_DEP_1)
	v_fma_f64 v[216:217], v[17:18], v[11:12], v[13:14]
	;; [unrolled: 42-line block ×3, first 2 shown]
	ds_load_b128 v[11:14], v10 offset:32368
	ds_load_b128 v[15:18], v0 offset:512
	v_add_nc_u32_e32 v0, v48, v1
	v_lshrrev_b32_e32 v10, 1, v0
	s_delay_alu instid0(VALU_DEP_1) | instskip(NEXT) | instid1(VALU_DEP_1)
	v_and_b32_e32 v10, 0x1f0, v10
	v_add_nc_u32_e32 v10, s33, v10
	s_waitcnt lgkmcnt(0)
	v_mul_f64 v[19:20], v[13:14], v[17:18]
	s_delay_alu instid0(VALU_DEP_1) | instskip(SKIP_4) | instid1(VALU_DEP_2)
	v_fma_f64 v[238:239], v[11:12], v[15:16], -v[19:20]
	v_mul_f64 v[11:12], v[11:12], v[17:18]
	v_add_nc_u32_e32 v19, v0, v1
	v_lshrrev_b32_e32 v1, 6, v0
	v_and_b32_e32 v0, 31, v0
	v_and_b32_e32 v1, 0x1f0, v1
	s_delay_alu instid0(VALU_DEP_2) | instskip(NEXT) | instid1(VALU_DEP_2)
	v_lshl_add_u32 v0, v0, 4, 0
	v_add_nc_u32_e32 v1, s33, v1
	v_fma_f64 v[240:241], v[13:14], v[15:16], v[11:12]
	v_lshrrev_b32_e32 v11, 6, v19
	s_delay_alu instid0(VALU_DEP_1) | instskip(NEXT) | instid1(VALU_DEP_1)
	v_and_b32_e32 v11, 0x1f0, v11
	v_add_nc_u32_e32 v20, s33, v11
	ds_load_b128 v[11:14], v10 offset:512
	ds_load_b128 v[15:18], v0 offset:32368
	;; [unrolled: 1-line block ×4, first 2 shown]
	v_lshrrev_b32_e32 v10, 1, v19
	s_delay_alu instid0(VALU_DEP_1) | instskip(NEXT) | instid1(VALU_DEP_1)
	v_and_b32_e32 v10, 0x1f0, v10
	v_add_nc_u32_e32 v10, s33, v10
	s_waitcnt lgkmcnt(2)
	v_mul_f64 v[0:1], v[17:18], v[13:14]
	v_mul_f64 v[13:14], v[15:16], v[13:14]
	s_delay_alu instid0(VALU_DEP_2) | instskip(NEXT) | instid1(VALU_DEP_2)
	v_fma_f64 v[0:1], v[15:16], v[11:12], -v[0:1]
	v_fma_f64 v[242:243], v[17:18], v[11:12], v[13:14]
	v_and_b32_e32 v11, 31, v19
	s_delay_alu instid0(VALU_DEP_1) | instskip(SKIP_3) | instid1(VALU_DEP_1)
	v_lshl_add_u32 v11, v11, 4, 0
	ds_load_b128 v[11:14], v11 offset:32368
	ds_load_b128 v[15:18], v10 offset:512
	v_mul_u32_u24_e32 v10, 0x70, v69
	v_add3_u32 v10, 0, v10, v25
	v_lshlrev_b32_e32 v25, 8, v59
	s_waitcnt lgkmcnt(0)
	v_mul_f64 v[19:20], v[13:14], v[17:18]
	s_delay_alu instid0(VALU_DEP_1) | instskip(SKIP_1) | instid1(VALU_DEP_1)
	v_fma_f64 v[244:245], v[11:12], v[15:16], -v[19:20]
	v_mul_f64 v[11:12], v[11:12], v[17:18]
	v_fma_f64 v[246:247], v[13:14], v[15:16], v[11:12]
	global_load_b128 v[11:14], v25, s[0:1] offset:112
	ds_load_b128 v[15:18], v10 offset:15232
	ds_load_b128 v[70:73], v10 offset:17136
	global_load_b128 v[74:77], v25, s[0:1] offset:96
	s_waitcnt vmcnt(1) lgkmcnt(1)
	v_mul_f64 v[19:20], v[15:16], v[13:14]
	v_mul_f64 v[13:14], v[17:18], v[13:14]
	s_delay_alu instid0(VALU_DEP_2) | instskip(NEXT) | instid1(VALU_DEP_2)
	v_fma_f64 v[59:60], v[17:18], v[11:12], v[19:20]
	v_fma_f64 v[61:62], v[15:16], v[11:12], -v[13:14]
	s_clause 0x1
	global_load_b128 v[11:14], v25, s[0:1] offset:128
	global_load_b128 v[15:18], v25, s[0:1] offset:144
	s_waitcnt vmcnt(1) lgkmcnt(0)
	v_mul_f64 v[19:20], v[70:71], v[13:14]
	v_mul_f64 v[13:14], v[72:73], v[13:14]
	s_delay_alu instid0(VALU_DEP_2) | instskip(NEXT) | instid1(VALU_DEP_2)
	v_fma_f64 v[78:79], v[72:73], v[11:12], v[19:20]
	v_fma_f64 v[69:70], v[70:71], v[11:12], -v[13:14]
	ds_load_b128 v[11:14], v10 offset:13328
	ds_load_b128 v[110:113], v10 offset:11424
	s_waitcnt lgkmcnt(1)
	v_mul_f64 v[19:20], v[11:12], v[76:77]
	s_delay_alu instid0(VALU_DEP_1) | instskip(SKIP_1) | instid1(VALU_DEP_1)
	v_fma_f64 v[71:72], v[13:14], v[74:75], v[19:20]
	v_mul_f64 v[13:14], v[13:14], v[76:77]
	v_fma_f64 v[118:119], v[11:12], v[74:75], -v[13:14]
	ds_load_b128 v[11:14], v10 offset:19040
	ds_load_b128 v[114:117], v10 offset:20944
	s_waitcnt vmcnt(0) lgkmcnt(1)
	v_mul_f64 v[19:20], v[11:12], v[17:18]
	s_delay_alu instid0(VALU_DEP_1) | instskip(SKIP_1) | instid1(VALU_DEP_1)
	v_fma_f64 v[76:77], v[13:14], v[15:16], v[19:20]
	v_mul_f64 v[13:14], v[13:14], v[17:18]
	v_fma_f64 v[120:121], v[11:12], v[15:16], -v[13:14]
	global_load_b128 v[11:14], v25, s[0:1]
	ds_load_b128 v[88:91], v10 offset:1904
	ds_load_b128 v[17:20], v10
	ds_load_b128 v[122:125], v10 offset:30464
	s_clause 0x1
	global_load_b128 v[140:143], v25, s[0:1] offset:16
	global_load_b128 v[152:155], v25, s[0:1] offset:224
	s_waitcnt vmcnt(2) lgkmcnt(2)
	v_mul_f64 v[15:16], v[88:89], v[13:14]
	v_mul_f64 v[13:14], v[90:91], v[13:14]
	s_delay_alu instid0(VALU_DEP_2) | instskip(NEXT) | instid1(VALU_DEP_2)
	v_fma_f64 v[126:127], v[90:91], v[11:12], v[15:16]
	v_fma_f64 v[146:147], v[88:89], v[11:12], -v[13:14]
	global_load_b128 v[11:14], v25, s[0:1] offset:240
	s_waitcnt vmcnt(0) lgkmcnt(0)
	v_mul_f64 v[15:16], v[122:123], v[13:14]
	v_mul_f64 v[13:14], v[124:125], v[13:14]
	s_delay_alu instid0(VALU_DEP_2) | instskip(NEXT) | instid1(VALU_DEP_2)
	v_fma_f64 v[73:74], v[124:125], v[11:12], v[15:16]
	v_fma_f64 v[122:123], v[122:123], v[11:12], -v[13:14]
	s_clause 0x1
	global_load_b128 v[11:14], v25, s[0:1] offset:80
	global_load_b128 v[132:135], v25, s[0:1] offset:64
	s_waitcnt vmcnt(1)
	v_mul_f64 v[15:16], v[110:111], v[13:14]
	v_mul_f64 v[13:14], v[112:113], v[13:14]
	s_delay_alu instid0(VALU_DEP_2) | instskip(NEXT) | instid1(VALU_DEP_2)
	v_fma_f64 v[138:139], v[112:113], v[11:12], v[15:16]
	v_fma_f64 v[150:151], v[110:111], v[11:12], -v[13:14]
	s_clause 0x1
	global_load_b128 v[11:14], v25, s[0:1] offset:160
	global_load_b128 v[110:113], v25, s[0:1] offset:176
	s_waitcnt vmcnt(1)
	v_mul_f64 v[15:16], v[114:115], v[13:14]
	v_mul_f64 v[13:14], v[116:117], v[13:14]
	s_delay_alu instid0(VALU_DEP_2) | instskip(NEXT) | instid1(VALU_DEP_2)
	v_fma_f64 v[124:125], v[116:117], v[11:12], v[15:16]
	v_fma_f64 v[130:131], v[114:115], v[11:12], -v[13:14]
	ds_load_b128 v[11:14], v10 offset:9520
	ds_load_b128 v[114:117], v10 offset:7616
	s_waitcnt lgkmcnt(1)
	v_mul_f64 v[15:16], v[11:12], v[134:135]
	s_delay_alu instid0(VALU_DEP_1) | instskip(SKIP_1) | instid1(VALU_DEP_1)
	v_fma_f64 v[170:171], v[13:14], v[132:133], v[15:16]
	v_mul_f64 v[13:14], v[13:14], v[134:135]
	v_fma_f64 v[172:173], v[11:12], v[132:133], -v[13:14]
	ds_load_b128 v[11:14], v10 offset:22848
	ds_load_b128 v[158:161], v10 offset:24752
	s_waitcnt vmcnt(0) lgkmcnt(1)
	v_mul_f64 v[15:16], v[11:12], v[112:113]
	s_delay_alu instid0(VALU_DEP_1) | instskip(SKIP_1) | instid1(VALU_DEP_1)
	v_fma_f64 v[132:133], v[13:14], v[110:111], v[15:16]
	v_mul_f64 v[13:14], v[13:14], v[112:113]
	v_fma_f64 v[156:157], v[11:12], v[110:111], -v[13:14]
	ds_load_b128 v[11:14], v10 offset:3808
	ds_load_b128 v[110:113], v10 offset:5712
	s_waitcnt lgkmcnt(1)
	v_mul_f64 v[15:16], v[11:12], v[142:143]
	s_delay_alu instid0(VALU_DEP_1) | instskip(SKIP_1) | instid1(VALU_DEP_1)
	v_fma_f64 v[176:177], v[13:14], v[140:141], v[15:16]
	v_mul_f64 v[13:14], v[13:14], v[142:143]
	v_fma_f64 v[182:183], v[11:12], v[140:141], -v[13:14]
	ds_load_b128 v[11:14], v10 offset:28560
	ds_load_b128 v[140:143], v10 offset:26656
	s_waitcnt lgkmcnt(1)
	v_mul_f64 v[15:16], v[11:12], v[154:155]
	s_delay_alu instid0(VALU_DEP_1) | instskip(SKIP_1) | instid1(VALU_DEP_1)
	v_fma_f64 v[166:167], v[13:14], v[152:153], v[15:16]
	v_mul_f64 v[13:14], v[13:14], v[154:155]
	v_fma_f64 v[152:153], v[11:12], v[152:153], -v[13:14]
	s_clause 0x1
	global_load_b128 v[11:14], v25, s[0:1] offset:48
	global_load_b128 v[162:165], v25, s[0:1] offset:32
	s_waitcnt vmcnt(1)
	v_mul_f64 v[15:16], v[114:115], v[13:14]
	v_mul_f64 v[13:14], v[116:117], v[13:14]
	s_delay_alu instid0(VALU_DEP_2) | instskip(NEXT) | instid1(VALU_DEP_2)
	v_fma_f64 v[228:229], v[116:117], v[11:12], v[15:16]
	v_fma_f64 v[226:227], v[114:115], v[11:12], -v[13:14]
	s_clause 0x1
	global_load_b128 v[11:14], v25, s[0:1] offset:192
	global_load_b128 v[114:117], v25, s[0:1] offset:208
	s_waitcnt vmcnt(1)
	v_mul_f64 v[15:16], v[158:159], v[13:14]
	v_mul_f64 v[13:14], v[160:161], v[13:14]
	s_delay_alu instid0(VALU_DEP_2) | instskip(NEXT) | instid1(VALU_DEP_2)
	v_fma_f64 v[154:155], v[160:161], v[11:12], v[15:16]
	v_fma_f64 v[158:159], v[158:159], v[11:12], -v[13:14]
	v_mul_f64 v[11:12], v[110:111], v[164:165]
	v_mul_f64 v[13:14], v[136:137], v[32:33]
	;; [unrolled: 1-line block ×3, first 2 shown]
	s_delay_alu instid0(VALU_DEP_3) | instskip(SKIP_1) | instid1(VALU_DEP_4)
	v_fma_f64 v[222:223], v[112:113], v[162:163], v[11:12]
	v_mul_f64 v[11:12], v[112:113], v[164:165]
	v_fma_f64 v[88:89], v[30:31], v[144:145], v[13:14]
	s_delay_alu instid0(VALU_DEP_4) | instskip(SKIP_1) | instid1(VALU_DEP_4)
	v_fma_f64 v[90:91], v[42:43], v[148:149], -v[15:16]
	v_add_f64 v[14:15], v[228:229], -v[154:155]
	v_fma_f64 v[224:225], v[110:111], v[162:163], -v[11:12]
	s_waitcnt vmcnt(0) lgkmcnt(0)
	v_mul_f64 v[11:12], v[140:141], v[116:117]
	s_delay_alu instid0(VALU_DEP_1) | instskip(SKIP_1) | instid1(VALU_DEP_1)
	v_fma_f64 v[110:111], v[142:143], v[114:115], v[11:12]
	v_mul_f64 v[11:12], v[142:143], v[116:117]
	v_fma_f64 v[254:255], v[140:141], v[114:115], -v[11:12]
	v_mul_f64 v[11:12], v[144:145], v[32:33]
	v_mul_f64 v[32:33], v[174:175], v[4:5]
	;; [unrolled: 1-line block ×3, first 2 shown]
	s_delay_alu instid0(VALU_DEP_3) | instskip(SKIP_1) | instid1(VALU_DEP_4)
	v_fma_f64 v[63:64], v[30:31], v[136:137], -v[11:12]
	v_mul_f64 v[30:31], v[148:149], v[44:45]
	v_fma_f64 v[49:50], v[2:3], v[46:47], -v[32:33]
	s_delay_alu instid0(VALU_DEP_4)
	v_fma_f64 v[45:46], v[2:3], v[174:175], v[4:5]
	v_mul_f64 v[4:5], v[190:191], v[8:9]
	v_mul_f64 v[2:3], v[180:181], v[53:54]
	v_mul_f64 v[47:48], v[28:29], v[96:97]
	v_mul_f64 v[28:29], v[28:29], v[128:129]
	v_add_f64 v[12:13], v[170:171], v[132:133]
	v_fma_f64 v[252:253], v[42:43], v[168:169], v[30:31]
	v_add_f64 v[43:44], v[176:177], -v[166:167]
	v_add_f64 v[31:32], v[222:223], v[110:111]
	v_fma_f64 v[250:251], v[6:7], v[186:187], -v[4:5]
	v_mul_f64 v[4:5], v[186:187], v[8:9]
	v_fma_f64 v[248:249], v[51:52], v[178:179], -v[2:3]
	v_mul_f64 v[2:3], v[178:179], v[53:54]
	v_mul_f64 v[8:9], v[196:197], v[36:37]
	v_add_f64 v[53:54], v[146:147], -v[122:123]
	v_fma_f64 v[140:141], v[6:7], v[190:191], v[4:5]
	v_mul_f64 v[6:7], v[192:193], v[23:24]
	v_fma_f64 v[142:143], v[51:52], v[180:181], v[2:3]
	v_fma_f64 v[198:199], v[34:35], v[200:201], v[8:9]
	v_add_f64 v[8:9], v[138:139], v[124:125]
	s_delay_alu instid0(VALU_DEP_4) | instskip(SKIP_2) | instid1(VALU_DEP_4)
	v_fma_f64 v[134:135], v[21:22], v[194:195], v[6:7]
	v_mul_f64 v[6:7], v[194:195], v[23:24]
	v_mul_f64 v[23:24], v[204:205], v[40:41]
	;; [unrolled: 1-line block ×3, first 2 shown]
	s_delay_alu instid0(VALU_DEP_3)
	v_fma_f64 v[136:137], v[21:22], v[192:193], -v[6:7]
	v_mul_f64 v[21:22], v[200:201], v[36:37]
	v_mul_f64 v[36:37], v[206:207], v[57:58]
	v_fma_f64 v[232:233], v[38:39], v[202:203], -v[23:24]
	v_add_f64 v[23:24], v[170:171], -v[132:133]
	v_mul_f64 v[192:193], v[31:32], s[14:15]
	v_mul_f64 v[200:201], v[14:15], s[6:7]
	v_fma_f64 v[196:197], v[34:35], v[196:197], -v[21:22]
	v_fma_f64 v[2:3], v[55:56], v[208:209], v[36:37]
	v_mul_f64 v[36:37], v[208:209], v[57:58]
	v_mul_f64 v[21:22], v[202:203], v[40:41]
	;; [unrolled: 1-line block ×3, first 2 shown]
	v_add_f64 v[33:34], v[176:177], v[166:167]
	v_mul_f64 v[208:209], v[43:44], s[38:39]
	v_mul_f64 v[194:195], v[23:24], s[44:45]
	scratch_store_b64 off, v[2:3], off offset:652 ; 8-byte Folded Spill
	v_fma_f64 v[2:3], v[55:56], v[206:207], -v[36:37]
	v_fma_f64 v[230:231], v[38:39], v[204:205], v[21:22]
	v_add_f64 v[55:56], v[182:183], -v[152:153]
	v_add_f64 v[38:39], v[126:127], -v[73:74]
	v_add_f64 v[21:22], v[228:229], v[154:155]
	v_mul_f64 v[202:203], v[33:34], s[18:19]
	scratch_store_b64 off, v[2:3], off offset:644 ; 8-byte Folded Spill
	v_fma_f64 v[2:3], v[65:66], v[212:213], v[41:42]
	v_mul_f64 v[41:42], v[212:213], v[67:68]
	v_add_f64 v[67:68], v[182:183], v[152:153]
	v_mul_f64 v[212:213], v[12:13], s[22:23]
	v_mul_f64 v[184:185], v[21:22], s[4:5]
	v_mul_f64 v[112:113], v[21:22], s[16:17]
	v_mul_f64 v[51:52], v[21:22], s[20:21]
	scratch_store_b64 off, v[2:3], off offset:524 ; 8-byte Folded Spill
	v_fma_f64 v[2:3], v[65:66], v[210:211], -v[41:42]
	v_add_f64 v[40:41], v[126:127], v[73:74]
	v_add_f64 v[65:66], v[146:147], v[122:123]
	v_mul_f64 v[210:211], v[38:39], s[34:35]
	scratch_store_b64 off, v[2:3], off offset:516 ; 8-byte Folded Spill
	v_fma_f64 v[2:3], v[26:27], v[128:129], v[47:48]
	v_mul_f64 v[4:5], v[40:41], s[4:5]
	v_mul_f64 v[204:205], v[40:41], s[24:25]
	scratch_store_b64 off, v[2:3], off offset:444 ; 8-byte Folded Spill
	v_fma_f64 v[2:3], v[26:27], v[96:97], -v[28:29]
	v_mul_f64 v[25:26], v[214:215], v[82:83]
	v_add_f64 v[29:30], v[222:223], -v[110:111]
	scratch_store_b64 off, v[2:3], off offset:436 ; 8-byte Folded Spill
	v_fma_f64 v[2:3], v[80:81], v[216:217], v[25:26]
	v_mul_f64 v[25:26], v[216:217], v[82:83]
	v_add_f64 v[82:83], v[226:227], -v[158:159]
	v_mul_f64 v[206:207], v[29:30], s[28:29]
	scratch_store_b64 off, v[2:3], off offset:476 ; 8-byte Folded Spill
	v_fma_f64 v[2:3], v[80:81], v[214:215], -v[25:26]
	v_mul_f64 v[25:26], v[218:219], v[86:87]
	v_add_f64 v[80:81], v[224:225], v[254:255]
	scratch_store_b64 off, v[2:3], off offset:468 ; 8-byte Folded Spill
	v_fma_f64 v[2:3], v[84:85], v[220:221], v[25:26]
	v_mul_f64 v[25:26], v[220:221], v[86:87]
	v_add_f64 v[86:87], v[172:173], -v[156:157]
	v_mul_f64 v[220:221], v[21:22], s[14:15]
	v_fma_f64 v[148:149], v[80:81], s[14:15], v[206:207]
	scratch_store_b64 off, v[2:3], off offset:372 ; 8-byte Folded Spill
	v_fma_f64 v[2:3], v[84:85], v[218:219], -v[25:26]
	v_mul_f64 v[25:26], v[234:235], v[94:95]
	v_add_f64 v[84:85], v[226:227], v[158:159]
	scratch_store_b64 off, v[2:3], off offset:364 ; 8-byte Folded Spill
	v_fma_f64 v[2:3], v[92:93], v[236:237], v[25:26]
	v_mul_f64 v[25:26], v[236:237], v[94:95]
	v_mul_f64 v[236:237], v[8:9], s[4:5]
	;; [unrolled: 1-line block ×3, first 2 shown]
	scratch_store_b64 off, v[2:3], off offset:228 ; 8-byte Folded Spill
	v_fma_f64 v[2:3], v[92:93], v[234:235], -v[25:26]
	v_mul_f64 v[25:26], v[238:239], v[100:101]
	v_add_f64 v[92:93], v[172:173], v[156:157]
	scratch_store_b64 off, v[2:3], off offset:212 ; 8-byte Folded Spill
	v_fma_f64 v[2:3], v[98:99], v[240:241], v[25:26]
	v_mul_f64 v[25:26], v[240:241], v[100:101]
	v_add_f64 v[100:101], v[150:151], v[130:131]
	v_mul_f64 v[240:241], v[33:34], s[20:21]
	v_fma_f64 v[162:163], v[92:93], s[8:9], v[194:195]
	scratch_store_b64 off, v[2:3], off offset:140 ; 8-byte Folded Spill
	v_fma_f64 v[2:3], v[98:99], v[238:239], -v[25:26]
	v_mul_f64 v[25:26], v[0:1], v[104:105]
	v_add_f64 v[98:99], v[150:151], -v[130:131]
	v_mul_f64 v[238:239], v[23:24], s[48:49]
	scratch_store_b64 off, v[2:3], off offset:132 ; 8-byte Folded Spill
	v_fma_f64 v[2:3], v[102:103], v[242:243], v[25:26]
	v_mul_f64 v[25:26], v[242:243], v[104:105]
	v_mul_f64 v[242:243], v[29:30], s[50:51]
	v_fma_f64 v[104:105], v[67:68], s[18:19], v[208:209]
	s_delay_alu instid0(VALU_DEP_3)
	v_fma_f64 v[0:1], v[102:103], v[0:1], -v[25:26]
	scratch_store_b64 off, v[2:3], off offset:100 ; 8-byte Folded Spill
	v_fma_f64 v[25:26], v[53:54], s[6:7], v[4:5]
	v_add_f64 v[102:103], v[118:119], -v[120:121]
	scratch_store_b64 off, v[0:1], off offset:108 ; 8-byte Folded Spill
	v_mul_f64 v[0:1], v[244:245], v[108:109]
	v_add_f64 v[25:26], v[19:20], v[25:26]
	s_delay_alu instid0(VALU_DEP_2) | instskip(SKIP_3) | instid1(VALU_DEP_2)
	v_fma_f64 v[0:1], v[106:107], v[246:247], v[0:1]
	scratch_store_b64 off, v[0:1], off offset:124 ; 8-byte Folded Spill
	v_mul_f64 v[0:1], v[246:247], v[108:109]
	v_mul_f64 v[246:247], v[31:32], s[18:19]
	v_fma_f64 v[0:1], v[106:107], v[244:245], -v[0:1]
	s_clause 0x5
	scratch_store_b64 off, v[0:1], off offset:116
	scratch_store_b64 off, v[73:74], off offset:452
	;; [unrolled: 1-line block ×6, first 2 shown]
	v_mul_f64 v[4:5], v[33:34], s[22:23]
	v_mul_f64 v[0:1], v[38:39], s[40:41]
	s_clause 0x3
	scratch_store_b64 off, v[166:167], off offset:484
	scratch_store_b64 off, v[176:177], off offset:548
	;; [unrolled: 1-line block ×4, first 2 shown]
	v_add_f64 v[74:75], v[224:225], -v[254:255]
	scratch_store_b64 off, v[110:111], off offset:500 ; 8-byte Folded Spill
	v_add_f64 v[106:107], v[118:119], v[120:121]
	v_mul_f64 v[244:245], v[14:15], s[28:29]
	v_mul_f64 v[182:183], v[12:13], s[8:9]
	;; [unrolled: 1-line block ×6, first 2 shown]
	scratch_store_b64 off, v[154:155], off offset:532 ; 8-byte Folded Spill
	v_fma_f64 v[154:155], v[82:83], s[40:41], v[184:185]
	scratch_store_b64 off, v[158:159], off offset:556 ; 8-byte Folded Spill
	v_fma_f64 v[158:159], v[84:85], s[4:5], v[200:201]
	v_fma_f64 v[27:28], v[55:56], s[48:49], v[4:5]
	s_clause 0x1
	scratch_store_b64 off, v[4:5], off offset:156
	scratch_store_b64 off, v[0:1], off offset:164
	v_mul_f64 v[4:5], v[12:13], s[14:15]
	v_fma_f64 v[144:145], v[74:75], s[46:47], v[192:193]
	v_fma_f64 v[160:161], v[86:87], s[10:11], v[182:183]
	;; [unrolled: 1-line block ×3, first 2 shown]
	v_add_f64 v[25:26], v[27:28], v[25:26]
	v_fma_f64 v[27:28], v[65:66], s[4:5], v[0:1]
	v_mul_f64 v[0:1], v[43:44], s[26:27]
	s_delay_alu instid0(VALU_DEP_2) | instskip(SKIP_3) | instid1(VALU_DEP_2)
	v_add_f64 v[27:28], v[17:18], v[27:28]
	scratch_store_b64 off, v[0:1], off offset:172 ; 8-byte Folded Spill
	v_fma_f64 v[47:48], v[67:68], s[22:23], v[0:1]
	v_mul_f64 v[0:1], v[31:32], s[8:9]
	v_add_f64 v[27:28], v[47:48], v[27:28]
	scratch_store_b64 off, v[0:1], off offset:188 ; 8-byte Folded Spill
	v_fma_f64 v[47:48], v[74:75], s[10:11], v[0:1]
	v_mul_f64 v[0:1], v[29:30], s[44:45]
	s_delay_alu instid0(VALU_DEP_2) | instskip(SKIP_3) | instid1(VALU_DEP_2)
	v_add_f64 v[25:26], v[47:48], v[25:26]
	scratch_store_b64 off, v[0:1], off offset:180 ; 8-byte Folded Spill
	v_fma_f64 v[47:48], v[80:81], s[8:9], v[0:1]
	v_mul_f64 v[0:1], v[21:22], s[24:25]
	v_add_f64 v[27:28], v[47:48], v[27:28]
	scratch_store_b64 off, v[0:1], off offset:196 ; 8-byte Folded Spill
	v_fma_f64 v[47:48], v[82:83], s[54:55], v[0:1]
	v_mul_f64 v[0:1], v[14:15], s[34:35]
	s_delay_alu instid0(VALU_DEP_2) | instskip(NEXT) | instid1(VALU_DEP_2)
	v_add_f64 v[25:26], v[47:48], v[25:26]
	v_fma_f64 v[47:48], v[84:85], s[24:25], v[0:1]
	scratch_store_b64 off, v[0:1], off offset:204 ; 8-byte Folded Spill
	v_mul_f64 v[0:1], v[23:24], s[46:47]
	s_clause 0x4
	scratch_store_b64 off, v[132:133], off offset:572
	scratch_store_b64 off, v[170:171], off offset:620
	;; [unrolled: 1-line block ×5, first 2 shown]
	v_mul_f64 v[172:173], v[40:41], s[14:15]
	v_mul_f64 v[170:171], v[38:39], s[46:47]
	;; [unrolled: 1-line block ×4, first 2 shown]
	v_add_f64 v[27:28], v[47:48], v[27:28]
	v_fma_f64 v[47:48], v[86:87], s[28:29], v[4:5]
	s_clause 0x5
	scratch_store_b64 off, v[0:1], off offset:236
	scratch_store_b64 off, v[124:125], off offset:612
	;; [unrolled: 1-line block ×6, first 2 shown]
	v_add_f64 v[4:5], v[59:60], -v[78:79]
	v_mul_f64 v[130:131], v[43:44], s[28:29]
	v_add_f64 v[25:26], v[47:48], v[25:26]
	v_fma_f64 v[47:48], v[92:93], s[14:15], v[0:1]
	s_delay_alu instid0(VALU_DEP_4) | instskip(SKIP_2) | instid1(VALU_DEP_4)
	v_mul_f64 v[2:3], v[4:5], s[38:39]
	v_mul_f64 v[216:217], v[4:5], s[42:43]
	;; [unrolled: 1-line block ×3, first 2 shown]
	v_add_f64 v[27:28], v[47:48], v[27:28]
	v_fma_f64 v[47:48], v[98:99], s[52:53], v[10:11]
	v_add_f64 v[10:11], v[138:139], -v[124:125]
	v_dual_mov_b32 v139, v62 :: v_dual_mov_b32 v138, v61
	v_mul_f64 v[124:125], v[33:34], s[14:15]
	v_mul_f64 v[61:62], v[23:24], s[40:41]
	s_delay_alu instid0(VALU_DEP_3)
	v_add_f64 v[110:111], v[138:139], v[69:70]
	v_add_f64 v[114:115], v[138:139], -v[69:70]
	v_add_f64 v[25:26], v[47:48], v[25:26]
	v_mul_f64 v[0:1], v[10:11], s[36:37]
	v_mul_f64 v[190:191], v[10:11], s[42:43]
	;; [unrolled: 1-line block ×4, first 2 shown]
	v_fma_f64 v[128:129], v[110:111], s[16:17], v[216:217]
	v_fma_f64 v[36:37], v[100:101], s[20:21], v[0:1]
	s_clause 0x4
	scratch_store_b64 off, v[0:1], off offset:252
	scratch_store_b64 off, v[71:72], off offset:692
	;; [unrolled: 1-line block ×5, first 2 shown]
	v_fma_f64 v[168:169], v[100:101], s[16:17], v[190:191]
	v_mul_f64 v[118:119], v[31:32], s[4:5]
	v_mul_f64 v[120:121], v[23:24], s[54:55]
	v_add_f64 v[27:28], v[36:37], v[27:28]
	v_add_f64 v[36:37], v[71:72], v[76:77]
	s_delay_alu instid0(VALU_DEP_1)
	v_mul_f64 v[6:7], v[36:37], s[16:17]
	v_mul_f64 v[234:235], v[36:37], s[24:25]
	;; [unrolled: 1-line block ×4, first 2 shown]
	scratch_store_b64 off, v[6:7], off offset:260 ; 8-byte Folded Spill
	v_fma_f64 v[47:48], v[102:103], s[30:31], v[6:7]
	v_add_f64 v[6:7], v[71:72], -v[76:77]
	v_fma_f64 v[174:175], v[102:103], s[36:37], v[188:189]
	v_mul_f64 v[76:77], v[43:44], s[10:11]
	v_mul_f64 v[71:72], v[29:30], s[34:35]
	v_add_f64 v[25:26], v[47:48], v[25:26]
	v_mul_f64 v[0:1], v[6:7], s[42:43]
	v_mul_f64 v[218:219], v[6:7], s[34:35]
	s_delay_alu instid0(VALU_DEP_2)
	v_fma_f64 v[47:48], v[106:107], s[16:17], v[0:1]
	s_clause 0x3
	scratch_store_b64 off, v[0:1], off offset:268
	scratch_store_b64 off, v[59:60], off offset:724
	scratch_store_b64 off, v[78:79], off offset:708
	scratch_store_b64 off, v[2:3], off offset:276
	v_add_f64 v[27:28], v[47:48], v[27:28]
	v_fma_f64 v[47:48], v[110:111], s[18:19], v[2:3]
	v_add_f64 v[2:3], v[59:60], v[78:79]
	v_mul_f64 v[78:79], v[38:39], s[42:43]
	s_delay_alu instid0(VALU_DEP_3) | instskip(NEXT) | instid1(VALU_DEP_3)
	v_add_f64 v[27:28], v[47:48], v[27:28]
	v_mul_f64 v[0:1], v[2:3], s[18:19]
	v_mul_f64 v[214:215], v[2:3], s[16:17]
	;; [unrolled: 1-line block ×3, first 2 shown]
	s_delay_alu instid0(VALU_DEP_3) | instskip(NEXT) | instid1(VALU_DEP_3)
	v_fma_f64 v[47:48], v[114:115], s[50:51], v[0:1]
	v_fma_f64 v[108:109], v[114:115], s[30:31], v[214:215]
	s_delay_alu instid0(VALU_DEP_2) | instskip(SKIP_1) | instid1(VALU_DEP_2)
	v_add_f64 v[25:26], v[47:48], v[25:26]
	v_mul_f64 v[47:48], v[27:28], v[88:89]
	v_mul_f64 v[57:58], v[25:26], v[88:89]
	s_delay_alu instid0(VALU_DEP_2) | instskip(SKIP_1) | instid1(VALU_DEP_3)
	v_fma_f64 v[59:60], v[25:26], v[63:64], v[47:48]
	v_mul_f64 v[88:89], v[36:37], s[18:19]
	v_fma_f64 v[57:58], v[27:28], v[63:64], -v[57:58]
	scratch_store_b64 off, v[0:1], off offset:284 ; 8-byte Folded Spill
	v_mul_f64 v[0:1], v[40:41], s[22:23]
	v_mul_f64 v[63:64], v[33:34], s[8:9]
	s_clause 0x1
	scratch_store_b128 off, v[57:60], off offset:12
	scratch_store_b64 off, v[0:1], off offset:300
	v_fma_f64 v[25:26], v[53:54], s[48:49], v[0:1]
	v_mul_f64 v[0:1], v[33:34], s[24:25]
	s_delay_alu instid0(VALU_DEP_2) | instskip(SKIP_3) | instid1(VALU_DEP_2)
	v_add_f64 v[25:26], v[19:20], v[25:26]
	scratch_store_b64 off, v[0:1], off offset:292 ; 8-byte Folded Spill
	v_fma_f64 v[27:28], v[55:56], s[54:55], v[0:1]
	v_mul_f64 v[0:1], v[38:39], s[26:27]
	v_add_f64 v[25:26], v[27:28], v[25:26]
	scratch_store_b64 off, v[0:1], off offset:324 ; 8-byte Folded Spill
	v_fma_f64 v[27:28], v[65:66], s[22:23], v[0:1]
	v_mul_f64 v[0:1], v[43:44], s[34:35]
	s_delay_alu instid0(VALU_DEP_2) | instskip(SKIP_3) | instid1(VALU_DEP_2)
	v_add_f64 v[27:28], v[17:18], v[27:28]
	scratch_store_b64 off, v[0:1], off offset:308 ; 8-byte Folded Spill
	v_fma_f64 v[47:48], v[67:68], s[24:25], v[0:1]
	v_mul_f64 v[0:1], v[31:32], s[20:21]
	v_add_f64 v[27:28], v[47:48], v[27:28]
	scratch_store_b64 off, v[0:1], off offset:316 ; 8-byte Folded Spill
	v_fma_f64 v[47:48], v[74:75], s[52:53], v[0:1]
	v_mul_f64 v[0:1], v[29:30], s[36:37]
	s_delay_alu instid0(VALU_DEP_2) | instskip(SKIP_3) | instid1(VALU_DEP_2)
	v_add_f64 v[25:26], v[47:48], v[25:26]
	scratch_store_b64 off, v[0:1], off offset:332 ; 8-byte Folded Spill
	v_fma_f64 v[47:48], v[80:81], s[20:21], v[0:1]
	v_mul_f64 v[0:1], v[21:22], s[18:19]
	v_add_f64 v[27:28], v[47:48], v[27:28]
	scratch_store_b64 off, v[0:1], off offset:340 ; 8-byte Folded Spill
	v_fma_f64 v[47:48], v[82:83], s[50:51], v[0:1]
	v_mul_f64 v[0:1], v[14:15], s[38:39]
	s_delay_alu instid0(VALU_DEP_2) | instskip(SKIP_3) | instid1(VALU_DEP_2)
	v_add_f64 v[25:26], v[47:48], v[25:26]
	scratch_store_b64 off, v[0:1], off offset:348 ; 8-byte Folded Spill
	v_fma_f64 v[47:48], v[84:85], s[18:19], v[0:1]
	v_mul_f64 v[0:1], v[12:13], s[16:17]
	v_add_f64 v[27:28], v[47:48], v[27:28]
	scratch_store_b64 off, v[0:1], off offset:356 ; 8-byte Folded Spill
	v_fma_f64 v[47:48], v[86:87], s[42:43], v[0:1]
	v_mul_f64 v[0:1], v[23:24], s[30:31]
	v_mul_f64 v[23:24], v[23:24], s[36:37]
	s_delay_alu instid0(VALU_DEP_3) | instskip(SKIP_3) | instid1(VALU_DEP_2)
	v_add_f64 v[25:26], v[47:48], v[25:26]
	scratch_store_b64 off, v[0:1], off offset:380 ; 8-byte Folded Spill
	v_fma_f64 v[47:48], v[92:93], s[16:17], v[0:1]
	v_mul_f64 v[0:1], v[8:9], s[14:15]
	v_add_f64 v[27:28], v[47:48], v[27:28]
	scratch_store_b64 off, v[0:1], off offset:388 ; 8-byte Folded Spill
	v_fma_f64 v[47:48], v[98:99], s[46:47], v[0:1]
	v_mul_f64 v[0:1], v[10:11], s[28:29]
	s_delay_alu instid0(VALU_DEP_2) | instskip(SKIP_3) | instid1(VALU_DEP_2)
	v_add_f64 v[25:26], v[47:48], v[25:26]
	scratch_store_b64 off, v[0:1], off offset:396 ; 8-byte Folded Spill
	v_fma_f64 v[47:48], v[100:101], s[14:15], v[0:1]
	v_mul_f64 v[0:1], v[36:37], s[8:9]
	v_add_f64 v[27:28], v[47:48], v[27:28]
	scratch_store_b64 off, v[0:1], off offset:404 ; 8-byte Folded Spill
	v_fma_f64 v[47:48], v[102:103], s[44:45], v[0:1]
	v_mul_f64 v[0:1], v[6:7], s[10:11]
	s_delay_alu instid0(VALU_DEP_2) | instskip(SKIP_3) | instid1(VALU_DEP_2)
	v_add_f64 v[25:26], v[47:48], v[25:26]
	scratch_store_b64 off, v[0:1], off offset:420 ; 8-byte Folded Spill
	v_fma_f64 v[47:48], v[106:107], s[8:9], v[0:1]
	v_mul_f64 v[0:1], v[4:5], s[6:7]
	v_add_f64 v[27:28], v[47:48], v[27:28]
	scratch_store_b64 off, v[0:1], off offset:412 ; 8-byte Folded Spill
	v_fma_f64 v[47:48], v[110:111], s[4:5], v[0:1]
	v_mul_f64 v[0:1], v[2:3], s[4:5]
	s_delay_alu instid0(VALU_DEP_2) | instskip(NEXT) | instid1(VALU_DEP_2)
	v_add_f64 v[27:28], v[47:48], v[27:28]
	v_fma_f64 v[47:48], v[114:115], s[40:41], v[0:1]
	s_delay_alu instid0(VALU_DEP_1) | instskip(NEXT) | instid1(VALU_DEP_3)
	v_add_f64 v[25:26], v[47:48], v[25:26]
	v_mul_f64 v[47:48], v[27:28], v[252:253]
	s_delay_alu instid0(VALU_DEP_2) | instskip(NEXT) | instid1(VALU_DEP_2)
	v_mul_f64 v[57:58], v[25:26], v[252:253]
	v_fma_f64 v[59:60], v[25:26], v[90:91], v[47:48]
	v_mul_f64 v[252:253], v[10:11], s[40:41]
	s_delay_alu instid0(VALU_DEP_3)
	v_fma_f64 v[57:58], v[27:28], v[90:91], -v[57:58]
	scratch_store_b64 off, v[0:1], off offset:428 ; 8-byte Folded Spill
	v_mul_f64 v[0:1], v[40:41], s[8:9]
	v_fma_f64 v[27:28], v[55:56], s[52:53], v[240:241]
	v_mul_f64 v[90:91], v[8:9], s[22:23]
	scratch_store_b128 off, v[57:60], off offset:28 ; 16-byte Folded Spill
	v_fma_f64 v[57:58], v[86:87], s[26:27], v[212:213]
	v_fma_f64 v[25:26], v[53:54], s[10:11], v[0:1]
	scratch_store_b64 off, v[0:1], off offset:604 ; 8-byte Folded Spill
	v_mul_f64 v[0:1], v[38:39], s[44:45]
	v_mul_f64 v[59:60], v[31:32], s[24:25]
	;; [unrolled: 1-line block ×3, first 2 shown]
	v_add_f64 v[25:26], v[19:20], v[25:26]
	scratch_store_b64 off, v[0:1], off offset:588 ; 8-byte Folded Spill
	v_add_f64 v[25:26], v[27:28], v[25:26]
	v_fma_f64 v[27:28], v[65:66], s[8:9], v[0:1]
	v_mul_f64 v[0:1], v[43:44], s[36:37]
	v_mul_f64 v[42:43], v[43:44], s[6:7]
	s_delay_alu instid0(VALU_DEP_3) | instskip(NEXT) | instid1(VALU_DEP_3)
	v_add_f64 v[27:28], v[17:18], v[27:28]
	v_fma_f64 v[47:48], v[67:68], s[20:21], v[0:1]
	scratch_store_b64 off, v[0:1], off offset:596 ; 8-byte Folded Spill
	v_add_f64 v[27:28], v[47:48], v[27:28]
	v_fma_f64 v[47:48], v[74:75], s[38:39], v[246:247]
	s_delay_alu instid0(VALU_DEP_1) | instskip(SKIP_1) | instid1(VALU_DEP_1)
	v_add_f64 v[25:26], v[47:48], v[25:26]
	v_fma_f64 v[47:48], v[80:81], s[18:19], v[242:243]
	v_add_f64 v[27:28], v[47:48], v[27:28]
	v_fma_f64 v[47:48], v[82:83], s[46:47], v[220:221]
	s_delay_alu instid0(VALU_DEP_1) | instskip(SKIP_1) | instid1(VALU_DEP_2)
	v_add_f64 v[47:48], v[47:48], v[25:26]
	v_fma_f64 v[25:26], v[84:85], s[14:15], v[244:245]
	v_add_f64 v[47:48], v[57:58], v[47:48]
	s_delay_alu instid0(VALU_DEP_2) | instskip(SKIP_1) | instid1(VALU_DEP_1)
	v_add_f64 v[27:28], v[25:26], v[27:28]
	v_fma_f64 v[57:58], v[92:93], s[22:23], v[238:239]
	v_add_f64 v[27:28], v[57:58], v[27:28]
	v_fma_f64 v[57:58], v[98:99], s[6:7], v[236:237]
	s_delay_alu instid0(VALU_DEP_1) | instskip(SKIP_1) | instid1(VALU_DEP_1)
	v_add_f64 v[47:48], v[57:58], v[47:48]
	v_fma_f64 v[57:58], v[100:101], s[4:5], v[252:253]
	v_add_f64 v[27:28], v[57:58], v[27:28]
	v_fma_f64 v[57:58], v[102:103], s[54:55], v[234:235]
	s_delay_alu instid0(VALU_DEP_1) | instskip(SKIP_3) | instid1(VALU_DEP_4)
	v_add_f64 v[0:1], v[57:58], v[47:48]
	v_fma_f64 v[47:48], v[106:107], s[24:25], v[218:219]
	v_mul_f64 v[57:58], v[10:11], s[38:39]
	v_mul_f64 v[10:11], v[10:11], s[10:11]
	v_add_f64 v[0:1], v[108:109], v[0:1]
	s_delay_alu instid0(VALU_DEP_4) | instskip(SKIP_1) | instid1(VALU_DEP_2)
	v_add_f64 v[27:28], v[47:48], v[27:28]
	v_mul_f64 v[47:48], v[4:5], s[46:47]
	v_add_f64 v[128:129], v[128:129], v[27:28]
	s_delay_alu instid0(VALU_DEP_1) | instskip(SKIP_1) | instid1(VALU_DEP_2)
	v_mul_f64 v[108:109], v[128:129], v[45:46]
	v_mul_f64 v[45:46], v[0:1], v[45:46]
	v_fma_f64 v[27:28], v[0:1], v[49:50], v[108:109]
	s_delay_alu instid0(VALU_DEP_2)
	v_fma_f64 v[25:26], v[128:129], v[49:50], -v[45:46]
	v_fma_f64 v[45:46], v[53:54], s[54:55], v[204:205]
	v_fma_f64 v[49:50], v[55:56], s[50:51], v[202:203]
	scratch_store_b64 off, v[69:70], off offset:716 ; 8-byte Folded Spill
	v_mul_f64 v[128:129], v[29:30], s[40:41]
	v_mul_f64 v[108:109], v[6:7], s[38:39]
	;; [unrolled: 1-line block ×4, first 2 shown]
	scratch_store_b128 off, v[25:28], off offset:44 ; 16-byte Folded Spill
	v_add_f64 v[45:46], v[19:20], v[45:46]
	s_delay_alu instid0(VALU_DEP_1) | instskip(SKIP_1) | instid1(VALU_DEP_2)
	v_add_f64 v[45:46], v[49:50], v[45:46]
	v_fma_f64 v[49:50], v[65:66], s[24:25], v[210:211]
	v_add_f64 v[45:46], v[144:145], v[45:46]
	s_delay_alu instid0(VALU_DEP_2) | instskip(SKIP_1) | instid1(VALU_DEP_3)
	v_add_f64 v[49:50], v[17:18], v[49:50]
	v_mul_f64 v[144:145], v[2:3], s[20:21]
	v_add_f64 v[45:46], v[154:155], v[45:46]
	s_delay_alu instid0(VALU_DEP_3) | instskip(SKIP_2) | instid1(VALU_DEP_4)
	v_add_f64 v[49:50], v[104:105], v[49:50]
	v_mul_f64 v[154:155], v[8:9], s[24:25]
	v_mul_f64 v[104:105], v[4:5], s[10:11]
	v_add_f64 v[45:46], v[160:161], v[45:46]
	s_delay_alu instid0(VALU_DEP_4)
	v_add_f64 v[49:50], v[148:149], v[49:50]
	v_mul_f64 v[160:161], v[14:15], s[44:45]
	v_mul_f64 v[148:149], v[6:7], s[40:41]
	;; [unrolled: 1-line block ×3, first 2 shown]
	v_add_f64 v[45:46], v[164:165], v[45:46]
	v_add_f64 v[49:50], v[158:159], v[49:50]
	v_mul_f64 v[164:165], v[29:30], s[48:49]
	v_mul_f64 v[158:159], v[12:13], s[18:19]
	;; [unrolled: 1-line block ×3, first 2 shown]
	v_add_f64 v[45:46], v[174:175], v[45:46]
	v_add_f64 v[49:50], v[162:163], v[49:50]
	v_mul_f64 v[174:175], v[6:7], s[52:53]
	v_mul_f64 v[162:163], v[21:22], s[8:9]
	;; [unrolled: 1-line block ×3, first 2 shown]
	s_delay_alu instid0(VALU_DEP_4) | instskip(NEXT) | instid1(VALU_DEP_4)
	v_add_f64 v[49:50], v[168:169], v[49:50]
	v_fma_f64 v[178:179], v[106:107], s[20:21], v[174:175]
	v_mul_f64 v[168:169], v[31:32], s[22:23]
	v_mul_f64 v[31:32], v[31:32], s[16:17]
	s_delay_alu instid0(VALU_DEP_3) | instskip(SKIP_2) | instid1(VALU_DEP_2)
	v_add_f64 v[49:50], v[178:179], v[49:50]
	v_mul_f64 v[178:179], v[4:5], s[48:49]
	v_mul_f64 v[4:5], v[4:5], s[54:55]
	v_fma_f64 v[180:181], v[110:111], s[22:23], v[178:179]
	s_delay_alu instid0(VALU_DEP_1) | instskip(SKIP_1) | instid1(VALU_DEP_1)
	v_add_f64 v[49:50], v[180:181], v[49:50]
	v_mul_f64 v[180:181], v[2:3], s[22:23]
	v_fma_f64 v[186:187], v[114:115], s[26:27], v[180:181]
	s_delay_alu instid0(VALU_DEP_1) | instskip(NEXT) | instid1(VALU_DEP_4)
	v_add_f64 v[45:46], v[186:187], v[45:46]
	v_mul_f64 v[186:187], v[49:50], v[142:143]
	s_delay_alu instid0(VALU_DEP_2) | instskip(NEXT) | instid1(VALU_DEP_2)
	v_mul_f64 v[142:143], v[45:46], v[142:143]
	v_fma_f64 v[27:28], v[45:46], v[248:249], v[186:187]
	v_mul_f64 v[186:187], v[33:34], s[16:17]
	v_mul_f64 v[45:46], v[2:3], s[14:15]
	;; [unrolled: 1-line block ×3, first 2 shown]
	v_fma_f64 v[25:26], v[49:50], v[248:249], -v[142:143]
	v_fma_f64 v[49:50], v[53:54], s[28:29], v[172:173]
	v_fma_f64 v[142:143], v[55:56], s[42:43], v[186:187]
	v_fma_f64 v[248:249], v[67:68], s[16:17], v[166:167]
	scratch_store_b128 off, v[25:28], off offset:60 ; 16-byte Folded Spill
	v_add_f64 v[49:50], v[19:20], v[49:50]
	s_delay_alu instid0(VALU_DEP_1) | instskip(SKIP_1) | instid1(VALU_DEP_1)
	v_add_f64 v[49:50], v[142:143], v[49:50]
	v_fma_f64 v[142:143], v[65:66], s[14:15], v[170:171]
	v_add_f64 v[142:143], v[17:18], v[142:143]
	s_delay_alu instid0(VALU_DEP_1) | instskip(SKIP_1) | instid1(VALU_DEP_1)
	v_add_f64 v[142:143], v[248:249], v[142:143]
	v_fma_f64 v[248:249], v[74:75], s[26:27], v[168:169]
	v_add_f64 v[49:50], v[248:249], v[49:50]
	v_fma_f64 v[248:249], v[80:81], s[22:23], v[164:165]
	s_delay_alu instid0(VALU_DEP_1) | instskip(SKIP_1) | instid1(VALU_DEP_1)
	v_add_f64 v[142:143], v[248:249], v[142:143]
	v_fma_f64 v[248:249], v[82:83], s[10:11], v[162:163]
	v_add_f64 v[49:50], v[248:249], v[49:50]
	v_fma_f64 v[248:249], v[84:85], s[8:9], v[160:161]
	;; [unrolled: 5-line block ×6, first 2 shown]
	s_delay_alu instid0(VALU_DEP_1) | instskip(NEXT) | instid1(VALU_DEP_3)
	v_add_f64 v[49:50], v[248:249], v[49:50]
	v_mul_f64 v[248:249], v[142:143], v[140:141]
	s_delay_alu instid0(VALU_DEP_2) | instskip(NEXT) | instid1(VALU_DEP_2)
	v_mul_f64 v[140:141], v[49:50], v[140:141]
	v_fma_f64 v[27:28], v[49:50], v[250:251], v[248:249]
	v_fma_f64 v[248:249], v[67:68], s[14:15], v[130:131]
	v_mul_f64 v[49:50], v[6:7], s[48:49]
	v_mul_f64 v[6:7], v[6:7], s[46:47]
	v_fma_f64 v[25:26], v[142:143], v[250:251], -v[140:141]
	v_fma_f64 v[140:141], v[53:54], s[52:53], v[126:127]
	v_fma_f64 v[142:143], v[55:56], s[46:47], v[124:125]
	scratch_store_b128 off, v[25:28], off offset:76 ; 16-byte Folded Spill
	v_add_f64 v[140:141], v[19:20], v[140:141]
	v_mul_f64 v[27:28], v[12:13], s[4:5]
	v_mul_f64 v[25:26], v[8:9], s[18:19]
	;; [unrolled: 1-line block ×4, first 2 shown]
	v_add_f64 v[140:141], v[142:143], v[140:141]
	v_fma_f64 v[142:143], v[65:66], s[20:21], v[132:133]
	s_delay_alu instid0(VALU_DEP_1) | instskip(NEXT) | instid1(VALU_DEP_1)
	v_add_f64 v[142:143], v[17:18], v[142:143]
	v_add_f64 v[142:143], v[248:249], v[142:143]
	v_fma_f64 v[248:249], v[74:75], s[6:7], v[118:119]
	s_delay_alu instid0(VALU_DEP_1) | instskip(SKIP_1) | instid1(VALU_DEP_1)
	v_add_f64 v[140:141], v[248:249], v[140:141]
	v_fma_f64 v[248:249], v[80:81], s[4:5], v[128:129]
	v_add_f64 v[142:143], v[248:249], v[142:143]
	v_fma_f64 v[248:249], v[82:83], s[30:31], v[112:113]
	s_delay_alu instid0(VALU_DEP_1) | instskip(SKIP_1) | instid1(VALU_DEP_1)
	v_add_f64 v[140:141], v[248:249], v[140:141]
	v_fma_f64 v[248:249], v[84:85], s[16:17], v[122:123]
	;; [unrolled: 5-line block ×6, first 2 shown]
	v_add_f64 v[140:141], v[248:249], v[140:141]
	s_delay_alu instid0(VALU_DEP_3) | instskip(NEXT) | instid1(VALU_DEP_2)
	v_mul_f64 v[248:249], v[142:143], v[134:135]
	v_mul_f64 v[134:135], v[140:141], v[134:135]
	s_delay_alu instid0(VALU_DEP_2) | instskip(SKIP_1) | instid1(VALU_DEP_3)
	v_fma_f64 v[250:251], v[140:141], v[136:137], v[248:249]
	v_fma_f64 v[140:141], v[55:56], s[44:45], v[63:64]
	v_fma_f64 v[248:249], v[142:143], v[136:137], -v[134:135]
	v_mul_f64 v[134:135], v[40:41], s[16:17]
	v_fma_f64 v[142:143], v[67:68], s[8:9], v[76:77]
	v_mul_f64 v[40:41], v[40:41], s[18:19]
	s_delay_alu instid0(VALU_DEP_3) | instskip(NEXT) | instid1(VALU_DEP_1)
	v_fma_f64 v[136:137], v[53:54], s[30:31], v[134:135]
	v_add_f64 v[136:137], v[19:20], v[136:137]
	s_delay_alu instid0(VALU_DEP_1) | instskip(SKIP_1) | instid1(VALU_DEP_1)
	v_add_f64 v[136:137], v[140:141], v[136:137]
	v_fma_f64 v[140:141], v[65:66], s[16:17], v[78:79]
	v_add_f64 v[140:141], v[17:18], v[140:141]
	s_delay_alu instid0(VALU_DEP_1) | instskip(SKIP_1) | instid1(VALU_DEP_1)
	v_add_f64 v[140:141], v[142:143], v[140:141]
	v_fma_f64 v[142:143], v[74:75], s[54:55], v[59:60]
	v_add_f64 v[136:137], v[142:143], v[136:137]
	v_fma_f64 v[142:143], v[80:81], s[24:25], v[71:72]
	s_delay_alu instid0(VALU_DEP_1) | instskip(SKIP_1) | instid1(VALU_DEP_1)
	v_add_f64 v[140:141], v[142:143], v[140:141]
	v_fma_f64 v[142:143], v[82:83], s[36:37], v[51:52]
	v_add_f64 v[136:137], v[142:143], v[136:137]
	v_fma_f64 v[142:143], v[84:85], s[20:21], v[69:70]
	;; [unrolled: 5-line block ×4, first 2 shown]
	s_delay_alu instid0(VALU_DEP_1) | instskip(SKIP_2) | instid1(VALU_DEP_2)
	v_add_f64 v[140:141], v[142:143], v[140:141]
	v_fma_f64 v[142:143], v[102:103], s[26:27], v[0:1]
	v_fma_f64 v[0:1], v[102:103], s[48:49], v[0:1]
	v_add_f64 v[136:137], v[142:143], v[136:137]
	v_fma_f64 v[142:143], v[106:107], s[22:23], v[49:50]
	s_delay_alu instid0(VALU_DEP_1) | instskip(SKIP_1) | instid1(VALU_DEP_1)
	v_add_f64 v[140:141], v[142:143], v[140:141]
	v_fma_f64 v[142:143], v[110:111], s[14:15], v[47:48]
	v_add_f64 v[140:141], v[142:143], v[140:141]
	v_fma_f64 v[142:143], v[114:115], s[28:29], v[45:46]
	s_delay_alu instid0(VALU_DEP_1) | instskip(NEXT) | instid1(VALU_DEP_3)
	v_add_f64 v[136:137], v[142:143], v[136:137]
	v_mul_f64 v[142:143], v[140:141], v[198:199]
	s_delay_alu instid0(VALU_DEP_2) | instskip(NEXT) | instid1(VALU_DEP_2)
	v_mul_f64 v[198:199], v[136:137], v[198:199]
	v_fma_f64 v[142:143], v[136:137], v[196:197], v[142:143]
	v_mul_f64 v[136:137], v[33:34], s[4:5]
	v_fma_f64 v[33:34], v[53:54], s[50:51], v[40:41]
	v_fma_f64 v[40:41], v[53:54], s[38:39], v[40:41]
	v_fma_f64 v[140:141], v[140:141], v[196:197], -v[198:199]
	v_fma_f64 v[198:199], v[67:68], s[4:5], v[42:43]
	v_fma_f64 v[196:197], v[55:56], s[40:41], v[136:137]
	v_add_f64 v[33:34], v[19:20], v[33:34]
	v_add_f64 v[40:41], v[19:20], v[40:41]
	v_fma_f64 v[136:137], v[55:56], s[6:7], v[136:137]
	s_delay_alu instid0(VALU_DEP_3) | instskip(SKIP_1) | instid1(VALU_DEP_3)
	v_add_f64 v[33:34], v[196:197], v[33:34]
	v_fma_f64 v[196:197], v[65:66], s[18:19], v[38:39]
	v_add_f64 v[40:41], v[136:137], v[40:41]
	s_delay_alu instid0(VALU_DEP_2) | instskip(NEXT) | instid1(VALU_DEP_1)
	v_add_f64 v[196:197], v[17:18], v[196:197]
	v_add_f64 v[196:197], v[198:199], v[196:197]
	v_fma_f64 v[198:199], v[74:75], s[30:31], v[31:32]
	v_fma_f64 v[31:32], v[74:75], s[42:43], v[31:32]
	s_delay_alu instid0(VALU_DEP_2) | instskip(SKIP_1) | instid1(VALU_DEP_3)
	v_add_f64 v[33:34], v[198:199], v[33:34]
	v_fma_f64 v[198:199], v[80:81], s[16:17], v[29:30]
	v_add_f64 v[31:32], v[31:32], v[40:41]
	s_delay_alu instid0(VALU_DEP_2) | instskip(SKIP_2) | instid1(VALU_DEP_2)
	v_add_f64 v[196:197], v[198:199], v[196:197]
	v_fma_f64 v[198:199], v[82:83], s[26:27], v[21:22]
	v_fma_f64 v[21:22], v[82:83], s[48:49], v[21:22]
	v_add_f64 v[33:34], v[198:199], v[33:34]
	v_fma_f64 v[198:199], v[84:85], s[22:23], v[14:15]
	s_delay_alu instid0(VALU_DEP_3) | instskip(SKIP_1) | instid1(VALU_DEP_3)
	v_add_f64 v[21:22], v[21:22], v[31:32]
	v_fma_f64 v[14:15], v[84:85], s[22:23], -v[14:15]
	v_add_f64 v[196:197], v[198:199], v[196:197]
	v_fma_f64 v[198:199], v[86:87], s[52:53], v[12:13]
	v_fma_f64 v[12:13], v[86:87], s[36:37], v[12:13]
	s_delay_alu instid0(VALU_DEP_2) | instskip(SKIP_1) | instid1(VALU_DEP_3)
	v_add_f64 v[33:34], v[198:199], v[33:34]
	v_fma_f64 v[198:199], v[98:99], s[44:45], v[8:9]
	v_add_f64 v[12:13], v[12:13], v[21:22]
	v_fma_f64 v[8:9], v[98:99], s[10:11], v[8:9]
	v_fma_f64 v[21:22], v[67:68], s[4:5], -v[42:43]
	s_delay_alu instid0(VALU_DEP_4) | instskip(SKIP_1) | instid1(VALU_DEP_4)
	v_add_f64 v[33:34], v[198:199], v[33:34]
	v_mul_f64 v[198:199], v[36:37], s[14:15]
	v_add_f64 v[8:9], v[8:9], v[12:13]
	s_delay_alu instid0(VALU_DEP_2) | instskip(SKIP_1) | instid1(VALU_DEP_2)
	v_fma_f64 v[12:13], v[102:103], s[46:47], v[198:199]
	v_fma_f64 v[35:36], v[102:103], s[28:29], v[198:199]
	v_add_f64 v[8:9], v[12:13], v[8:9]
	v_fma_f64 v[12:13], v[65:66], s[18:19], -v[38:39]
	s_delay_alu instid0(VALU_DEP_3) | instskip(SKIP_1) | instid1(VALU_DEP_3)
	v_add_f64 v[33:34], v[35:36], v[33:34]
	v_fma_f64 v[35:36], v[92:93], s[20:21], v[23:24]
	v_add_f64 v[12:13], v[17:18], v[12:13]
	s_delay_alu instid0(VALU_DEP_2) | instskip(SKIP_2) | instid1(VALU_DEP_4)
	v_add_f64 v[35:36], v[35:36], v[196:197]
	v_fma_f64 v[196:197], v[100:101], s[8:9], v[10:11]
	v_fma_f64 v[10:11], v[100:101], s[8:9], -v[10:11]
	v_add_f64 v[12:13], v[21:22], v[12:13]
	v_fma_f64 v[21:22], v[80:81], s[16:17], -v[29:30]
	s_delay_alu instid0(VALU_DEP_4) | instskip(SKIP_2) | instid1(VALU_DEP_4)
	v_add_f64 v[35:36], v[196:197], v[35:36]
	v_fma_f64 v[196:197], v[106:107], s[14:15], v[6:7]
	v_fma_f64 v[6:7], v[106:107], s[14:15], -v[6:7]
	v_add_f64 v[12:13], v[21:22], v[12:13]
	s_delay_alu instid0(VALU_DEP_3) | instskip(SKIP_2) | instid1(VALU_DEP_4)
	v_add_f64 v[35:36], v[196:197], v[35:36]
	v_fma_f64 v[196:197], v[110:111], s[24:25], v[4:5]
	v_fma_f64 v[4:5], v[110:111], s[24:25], -v[4:5]
	v_add_f64 v[12:13], v[14:15], v[12:13]
	v_fma_f64 v[14:15], v[92:93], s[20:21], -v[23:24]
	s_delay_alu instid0(VALU_DEP_4) | instskip(SKIP_2) | instid1(VALU_DEP_4)
	v_add_f64 v[196:197], v[196:197], v[35:36]
	v_fma_f64 v[35:36], v[114:115], s[34:35], v[2:3]
	v_fma_f64 v[2:3], v[114:115], s[54:55], v[2:3]
	v_add_f64 v[12:13], v[14:15], v[12:13]
	scratch_load_b64 v[14:15], off, off offset:308 ; 8-byte Folded Reload
	v_add_f64 v[33:34], v[35:36], v[33:34]
	v_add_f64 v[2:3], v[2:3], v[8:9]
	scratch_load_b64 v[8:9], off, off offset:652 ; 8-byte Folded Reload
	v_mul_f64 v[35:36], v[196:197], v[230:231]
	v_add_f64 v[10:11], v[10:11], v[12:13]
	scratch_load_b64 v[12:13], off, off offset:116 ; 8-byte Folded Reload
	v_mul_f64 v[230:231], v[33:34], v[230:231]
	v_fma_f64 v[35:36], v[33:34], v[232:233], v[35:36]
	v_add_f64 v[6:7], v[6:7], v[10:11]
	scratch_load_b64 v[10:11], off, off offset:644 ; 8-byte Folded Reload
	v_fma_f64 v[33:34], v[196:197], v[232:233], -v[230:231]
	v_add_f64 v[4:5], v[4:5], v[6:7]
	s_waitcnt vmcnt(3)
	v_fma_f64 v[14:15], v[67:68], s[24:25], -v[14:15]
	s_waitcnt vmcnt(2)
	s_delay_alu instid0(VALU_DEP_2) | instskip(SKIP_2) | instid1(VALU_DEP_2)
	v_mul_f64 v[6:7], v[4:5], v[8:9]
	v_mul_f64 v[8:9], v[2:3], v[8:9]
	s_waitcnt vmcnt(0)
	v_fma_f64 v[39:40], v[2:3], v[10:11], v[6:7]
	v_fma_f64 v[2:3], v[53:54], s[42:43], v[134:135]
	s_delay_alu instid0(VALU_DEP_3)
	v_fma_f64 v[37:38], v[4:5], v[10:11], -v[8:9]
	v_fma_f64 v[4:5], v[55:56], s[10:11], v[63:64]
	s_clause 0x2
	scratch_load_b64 v[6:7], off, off offset:524
	scratch_load_b64 v[8:9], off, off offset:516
	;; [unrolled: 1-line block ×3, first 2 shown]
	v_add_f64 v[2:3], v[19:20], v[2:3]
	s_delay_alu instid0(VALU_DEP_1) | instskip(SKIP_1) | instid1(VALU_DEP_1)
	v_add_f64 v[2:3], v[4:5], v[2:3]
	v_fma_f64 v[4:5], v[74:75], s[34:35], v[59:60]
	v_add_f64 v[2:3], v[4:5], v[2:3]
	v_fma_f64 v[4:5], v[82:83], s[52:53], v[51:52]
	s_delay_alu instid0(VALU_DEP_1) | instskip(SKIP_1) | instid1(VALU_DEP_1)
	v_add_f64 v[2:3], v[4:5], v[2:3]
	v_fma_f64 v[4:5], v[86:87], s[40:41], v[27:28]
	v_add_f64 v[2:3], v[4:5], v[2:3]
	v_fma_f64 v[4:5], v[98:99], s[38:39], v[25:26]
	s_delay_alu instid0(VALU_DEP_1) | instskip(SKIP_1) | instid1(VALU_DEP_2)
	v_add_f64 v[2:3], v[4:5], v[2:3]
	v_fma_f64 v[4:5], v[67:68], s[8:9], -v[76:77]
	v_add_f64 v[0:1], v[0:1], v[2:3]
	v_fma_f64 v[2:3], v[65:66], s[16:17], -v[78:79]
	s_delay_alu instid0(VALU_DEP_1) | instskip(NEXT) | instid1(VALU_DEP_1)
	v_add_f64 v[2:3], v[17:18], v[2:3]
	v_add_f64 v[2:3], v[4:5], v[2:3]
	v_fma_f64 v[4:5], v[80:81], s[24:25], -v[71:72]
	s_delay_alu instid0(VALU_DEP_1) | instskip(SKIP_1) | instid1(VALU_DEP_1)
	v_add_f64 v[2:3], v[4:5], v[2:3]
	v_fma_f64 v[4:5], v[84:85], s[20:21], -v[69:70]
	v_add_f64 v[2:3], v[4:5], v[2:3]
	v_fma_f64 v[4:5], v[92:93], s[4:5], -v[61:62]
	s_delay_alu instid0(VALU_DEP_1) | instskip(SKIP_1) | instid1(VALU_DEP_1)
	v_add_f64 v[2:3], v[4:5], v[2:3]
	v_fma_f64 v[4:5], v[100:101], s[18:19], -v[57:58]
	;; [unrolled: 5-line block ×3, first 2 shown]
	v_add_f64 v[2:3], v[4:5], v[2:3]
	v_fma_f64 v[4:5], v[114:115], s[46:47], v[45:46]
	s_delay_alu instid0(VALU_DEP_1) | instskip(SKIP_1) | instid1(VALU_DEP_3)
	v_add_f64 v[0:1], v[4:5], v[0:1]
	s_waitcnt vmcnt(2)
	v_mul_f64 v[4:5], v[2:3], v[6:7]
	s_delay_alu instid0(VALU_DEP_2) | instskip(SKIP_1) | instid1(VALU_DEP_2)
	v_mul_f64 v[6:7], v[0:1], v[6:7]
	s_waitcnt vmcnt(1)
	v_fma_f64 v[43:44], v[0:1], v[8:9], v[4:5]
	v_fma_f64 v[0:1], v[53:54], s[36:37], v[126:127]
	v_fma_f64 v[4:5], v[67:68], s[14:15], -v[130:131]
	s_delay_alu instid0(VALU_DEP_4) | instskip(SKIP_1) | instid1(VALU_DEP_4)
	v_fma_f64 v[41:42], v[2:3], v[8:9], -v[6:7]
	v_fma_f64 v[2:3], v[55:56], s[28:29], v[124:125]
	v_add_f64 v[0:1], v[19:20], v[0:1]
	s_clause 0x1
	scratch_load_b64 v[6:7], off, off offset:476
	scratch_load_b64 v[8:9], off, off offset:468
	v_add_f64 v[0:1], v[2:3], v[0:1]
	v_fma_f64 v[2:3], v[74:75], s[40:41], v[118:119]
	s_delay_alu instid0(VALU_DEP_1) | instskip(SKIP_1) | instid1(VALU_DEP_1)
	v_add_f64 v[0:1], v[2:3], v[0:1]
	v_fma_f64 v[2:3], v[82:83], s[42:43], v[112:113]
	v_add_f64 v[0:1], v[2:3], v[0:1]
	v_fma_f64 v[2:3], v[86:87], s[54:55], v[94:95]
	s_delay_alu instid0(VALU_DEP_1) | instskip(SKIP_1) | instid1(VALU_DEP_1)
	v_add_f64 v[0:1], v[2:3], v[0:1]
	v_fma_f64 v[2:3], v[98:99], s[26:27], v[90:91]
	v_add_f64 v[0:1], v[2:3], v[0:1]
	v_fma_f64 v[2:3], v[102:103], s[38:39], v[88:89]
	s_delay_alu instid0(VALU_DEP_1) | instskip(SKIP_1) | instid1(VALU_DEP_1)
	v_add_f64 v[0:1], v[2:3], v[0:1]
	v_fma_f64 v[2:3], v[65:66], s[20:21], -v[132:133]
	v_add_f64 v[2:3], v[17:18], v[2:3]
	s_delay_alu instid0(VALU_DEP_1) | instskip(SKIP_1) | instid1(VALU_DEP_1)
	v_add_f64 v[2:3], v[4:5], v[2:3]
	v_fma_f64 v[4:5], v[80:81], s[4:5], -v[128:129]
	v_add_f64 v[2:3], v[4:5], v[2:3]
	v_fma_f64 v[4:5], v[84:85], s[16:17], -v[122:123]
	s_delay_alu instid0(VALU_DEP_1) | instskip(SKIP_1) | instid1(VALU_DEP_1)
	v_add_f64 v[2:3], v[4:5], v[2:3]
	v_fma_f64 v[4:5], v[92:93], s[24:25], -v[120:121]
	v_add_f64 v[2:3], v[4:5], v[2:3]
	v_fma_f64 v[4:5], v[100:101], s[22:23], -v[116:117]
	;; [unrolled: 5-line block ×3, first 2 shown]
	s_delay_alu instid0(VALU_DEP_1) | instskip(SKIP_1) | instid1(VALU_DEP_1)
	v_add_f64 v[2:3], v[4:5], v[2:3]
	v_fma_f64 v[4:5], v[114:115], s[10:11], v[96:97]
	v_add_f64 v[0:1], v[4:5], v[0:1]
	s_waitcnt vmcnt(1)
	s_delay_alu instid0(VALU_DEP_3) | instskip(NEXT) | instid1(VALU_DEP_2)
	v_mul_f64 v[4:5], v[2:3], v[6:7]
	v_mul_f64 v[6:7], v[0:1], v[6:7]
	s_waitcnt vmcnt(0)
	s_delay_alu instid0(VALU_DEP_2)
	v_fma_f64 v[232:233], v[0:1], v[8:9], v[4:5]
	s_clause 0x1
	scratch_load_b64 v[0:1], off, off offset:540
	scratch_load_b64 v[4:5], off, off offset:548
	v_fma_f64 v[230:231], v[2:3], v[8:9], -v[6:7]
	s_clause 0x2
	scratch_load_b64 v[2:3], off, off offset:564
	scratch_load_b64 v[6:7], off, off offset:444
	;; [unrolled: 1-line block ×3, first 2 shown]
	s_waitcnt vmcnt(4)
	v_add_f64 v[0:1], v[17:18], v[0:1]
	s_waitcnt vmcnt(2)
	s_delay_alu instid0(VALU_DEP_1) | instskip(SKIP_2) | instid1(VALU_DEP_1)
	v_add_f64 v[0:1], v[0:1], v[2:3]
	scratch_load_b64 v[2:3], off, off offset:508 ; 8-byte Folded Reload
	v_add_f64 v[0:1], v[0:1], v[224:225]
	v_add_f64 v[0:1], v[0:1], v[226:227]
	s_waitcnt vmcnt(0)
	v_add_f64 v[2:3], v[19:20], v[2:3]
	s_delay_alu instid0(VALU_DEP_1) | instskip(SKIP_2) | instid1(VALU_DEP_1)
	v_add_f64 v[2:3], v[2:3], v[4:5]
	scratch_load_b64 v[4:5], off, off offset:636 ; 8-byte Folded Reload
	v_add_f64 v[2:3], v[2:3], v[222:223]
	v_add_f64 v[2:3], v[2:3], v[228:229]
	s_waitcnt vmcnt(0)
	v_add_f64 v[0:1], v[0:1], v[4:5]
	scratch_load_b64 v[4:5], off, off offset:620 ; 8-byte Folded Reload
	s_waitcnt vmcnt(0)
	v_add_f64 v[2:3], v[2:3], v[4:5]
	scratch_load_b64 v[4:5], off, off offset:676 ; 8-byte Folded Reload
	;; [unrolled: 3-line block ×5, first 2 shown]
	v_add_f64 v[0:1], v[0:1], v[138:139]
	s_waitcnt vmcnt(0)
	v_add_f64 v[2:3], v[2:3], v[4:5]
	scratch_load_b64 v[4:5], off, off offset:724 ; 8-byte Folded Reload
	s_waitcnt vmcnt(0)
	v_add_f64 v[2:3], v[2:3], v[4:5]
	scratch_load_b64 v[4:5], off, off offset:716 ; 8-byte Folded Reload
	;; [unrolled: 3-line block ×11, first 2 shown]
	v_add_f64 v[0:1], v[0:1], v[254:255]
	s_waitcnt vmcnt(0)
	v_add_f64 v[2:3], v[2:3], v[4:5]
	scratch_load_b64 v[4:5], off, off offset:500 ; 8-byte Folded Reload
	s_waitcnt vmcnt(0)
	v_add_f64 v[2:3], v[2:3], v[4:5]
	scratch_load_b64 v[4:5], off, off offset:492 ; 8-byte Folded Reload
	;; [unrolled: 3-line block ×5, first 2 shown]
	s_waitcnt vmcnt(0)
	v_add_f64 v[2:3], v[2:3], v[4:5]
	v_mul_f64 v[4:5], v[0:1], v[6:7]
	s_delay_alu instid0(VALU_DEP_2) | instskip(NEXT) | instid1(VALU_DEP_2)
	v_mul_f64 v[6:7], v[2:3], v[6:7]
	v_fma_f64 v[61:62], v[2:3], v[8:9], v[4:5]
	v_fma_f64 v[2:3], v[55:56], s[30:31], v[186:187]
	v_fma_f64 v[4:5], v[67:68], s[16:17], -v[166:167]
	s_delay_alu instid0(VALU_DEP_4)
	v_fma_f64 v[59:60], v[0:1], v[8:9], -v[6:7]
	v_fma_f64 v[0:1], v[53:54], s[46:47], v[172:173]
	s_clause 0x1
	scratch_load_b64 v[6:7], off, off offset:372
	scratch_load_b64 v[8:9], off, off offset:364
	v_add_f64 v[0:1], v[19:20], v[0:1]
	s_delay_alu instid0(VALU_DEP_1) | instskip(SKIP_1) | instid1(VALU_DEP_1)
	v_add_f64 v[0:1], v[2:3], v[0:1]
	v_fma_f64 v[2:3], v[65:66], s[14:15], -v[170:171]
	v_add_f64 v[2:3], v[17:18], v[2:3]
	s_delay_alu instid0(VALU_DEP_1) | instskip(SKIP_1) | instid1(VALU_DEP_1)
	v_add_f64 v[2:3], v[4:5], v[2:3]
	v_fma_f64 v[4:5], v[74:75], s[48:49], v[168:169]
	v_add_f64 v[0:1], v[4:5], v[0:1]
	v_fma_f64 v[4:5], v[80:81], s[22:23], -v[164:165]
	s_delay_alu instid0(VALU_DEP_1) | instskip(SKIP_1) | instid1(VALU_DEP_1)
	v_add_f64 v[2:3], v[4:5], v[2:3]
	v_fma_f64 v[4:5], v[82:83], s[44:45], v[162:163]
	v_add_f64 v[0:1], v[4:5], v[0:1]
	v_fma_f64 v[4:5], v[84:85], s[8:9], -v[160:161]
	;; [unrolled: 5-line block ×5, first 2 shown]
	s_delay_alu instid0(VALU_DEP_1) | instskip(SKIP_1) | instid1(VALU_DEP_1)
	v_add_f64 v[2:3], v[4:5], v[2:3]
	v_fma_f64 v[4:5], v[110:111], s[20:21], -v[146:147]
	v_add_f64 v[2:3], v[4:5], v[2:3]
	v_fma_f64 v[4:5], v[114:115], s[36:37], v[144:145]
	s_delay_alu instid0(VALU_DEP_1) | instskip(SKIP_1) | instid1(VALU_DEP_3)
	v_add_f64 v[0:1], v[4:5], v[0:1]
	s_waitcnt vmcnt(1)
	v_mul_f64 v[4:5], v[2:3], v[6:7]
	s_delay_alu instid0(VALU_DEP_2) | instskip(SKIP_1) | instid1(VALU_DEP_2)
	v_mul_f64 v[6:7], v[0:1], v[6:7]
	s_waitcnt vmcnt(0)
	v_fma_f64 v[72:73], v[0:1], v[8:9], v[4:5]
	v_fma_f64 v[0:1], v[53:54], s[34:35], v[204:205]
	v_fma_f64 v[4:5], v[67:68], s[18:19], -v[208:209]
	s_delay_alu instid0(VALU_DEP_4) | instskip(SKIP_1) | instid1(VALU_DEP_4)
	v_fma_f64 v[70:71], v[2:3], v[8:9], -v[6:7]
	v_fma_f64 v[2:3], v[55:56], s[38:39], v[202:203]
	v_add_f64 v[0:1], v[19:20], v[0:1]
	s_clause 0x1
	scratch_load_b64 v[6:7], off, off offset:228
	scratch_load_b64 v[8:9], off, off offset:212
	v_add_f64 v[0:1], v[2:3], v[0:1]
	v_fma_f64 v[2:3], v[74:75], s[28:29], v[192:193]
	s_delay_alu instid0(VALU_DEP_1) | instskip(SKIP_1) | instid1(VALU_DEP_1)
	v_add_f64 v[0:1], v[2:3], v[0:1]
	v_fma_f64 v[2:3], v[82:83], s[6:7], v[184:185]
	v_add_f64 v[0:1], v[2:3], v[0:1]
	v_fma_f64 v[2:3], v[86:87], s[44:45], v[182:183]
	s_delay_alu instid0(VALU_DEP_1) | instskip(SKIP_1) | instid1(VALU_DEP_1)
	v_add_f64 v[0:1], v[2:3], v[0:1]
	v_fma_f64 v[2:3], v[98:99], s[42:43], v[176:177]
	v_add_f64 v[0:1], v[2:3], v[0:1]
	v_fma_f64 v[2:3], v[65:66], s[24:25], -v[210:211]
	s_delay_alu instid0(VALU_DEP_1) | instskip(NEXT) | instid1(VALU_DEP_1)
	v_add_f64 v[2:3], v[17:18], v[2:3]
	v_add_f64 v[2:3], v[4:5], v[2:3]
	v_fma_f64 v[4:5], v[80:81], s[14:15], -v[206:207]
	s_delay_alu instid0(VALU_DEP_1) | instskip(SKIP_1) | instid1(VALU_DEP_1)
	v_add_f64 v[2:3], v[4:5], v[2:3]
	v_fma_f64 v[4:5], v[84:85], s[4:5], -v[200:201]
	v_add_f64 v[2:3], v[4:5], v[2:3]
	v_fma_f64 v[4:5], v[92:93], s[8:9], -v[194:195]
	s_delay_alu instid0(VALU_DEP_1) | instskip(SKIP_1) | instid1(VALU_DEP_1)
	v_add_f64 v[2:3], v[4:5], v[2:3]
	v_fma_f64 v[4:5], v[100:101], s[16:17], -v[190:191]
	v_add_f64 v[2:3], v[4:5], v[2:3]
	v_fma_f64 v[4:5], v[102:103], s[52:53], v[188:189]
	s_delay_alu instid0(VALU_DEP_1) | instskip(SKIP_1) | instid1(VALU_DEP_1)
	v_add_f64 v[0:1], v[4:5], v[0:1]
	v_fma_f64 v[4:5], v[106:107], s[20:21], -v[174:175]
	v_add_f64 v[2:3], v[4:5], v[2:3]
	v_fma_f64 v[4:5], v[110:111], s[22:23], -v[178:179]
	s_delay_alu instid0(VALU_DEP_1) | instskip(SKIP_1) | instid1(VALU_DEP_1)
	v_add_f64 v[2:3], v[4:5], v[2:3]
	v_fma_f64 v[4:5], v[114:115], s[48:49], v[180:181]
	v_add_f64 v[0:1], v[4:5], v[0:1]
	s_waitcnt vmcnt(1)
	s_delay_alu instid0(VALU_DEP_3) | instskip(NEXT) | instid1(VALU_DEP_2)
	v_mul_f64 v[4:5], v[2:3], v[6:7]
	v_mul_f64 v[6:7], v[0:1], v[6:7]
	s_waitcnt vmcnt(0)
	s_delay_alu instid0(VALU_DEP_2)
	v_fma_f64 v[78:79], v[0:1], v[8:9], v[4:5]
	s_clause 0x1
	scratch_load_b64 v[0:1], off, off offset:604
	scratch_load_b64 v[4:5], off, off offset:596
	v_fma_f64 v[76:77], v[2:3], v[8:9], -v[6:7]
	v_fma_f64 v[2:3], v[55:56], s[36:37], v[240:241]
	s_clause 0x1
	scratch_load_b64 v[6:7], off, off offset:140
	scratch_load_b64 v[8:9], off, off offset:132
	s_waitcnt vmcnt(3)
	v_fma_f64 v[0:1], v[53:54], s[44:45], v[0:1]
	s_waitcnt vmcnt(2)
	v_fma_f64 v[4:5], v[67:68], s[20:21], -v[4:5]
	s_delay_alu instid0(VALU_DEP_2) | instskip(NEXT) | instid1(VALU_DEP_1)
	v_add_f64 v[0:1], v[19:20], v[0:1]
	v_add_f64 v[0:1], v[2:3], v[0:1]
	v_fma_f64 v[2:3], v[74:75], s[50:51], v[246:247]
	s_delay_alu instid0(VALU_DEP_1) | instskip(SKIP_1) | instid1(VALU_DEP_1)
	v_add_f64 v[0:1], v[2:3], v[0:1]
	v_fma_f64 v[2:3], v[82:83], s[28:29], v[220:221]
	v_add_f64 v[0:1], v[2:3], v[0:1]
	v_fma_f64 v[2:3], v[86:87], s[48:49], v[212:213]
	s_delay_alu instid0(VALU_DEP_1) | instskip(SKIP_3) | instid1(VALU_DEP_1)
	v_add_f64 v[0:1], v[2:3], v[0:1]
	scratch_load_b64 v[2:3], off, off offset:588 ; 8-byte Folded Reload
	s_waitcnt vmcnt(0)
	v_fma_f64 v[2:3], v[65:66], s[8:9], -v[2:3]
	v_add_f64 v[2:3], v[17:18], v[2:3]
	s_delay_alu instid0(VALU_DEP_1) | instskip(SKIP_1) | instid1(VALU_DEP_1)
	v_add_f64 v[2:3], v[4:5], v[2:3]
	v_fma_f64 v[4:5], v[80:81], s[18:19], -v[242:243]
	v_add_f64 v[2:3], v[4:5], v[2:3]
	v_fma_f64 v[4:5], v[84:85], s[14:15], -v[244:245]
	s_delay_alu instid0(VALU_DEP_1) | instskip(SKIP_1) | instid1(VALU_DEP_1)
	v_add_f64 v[2:3], v[4:5], v[2:3]
	v_fma_f64 v[4:5], v[92:93], s[22:23], -v[238:239]
	v_add_f64 v[2:3], v[4:5], v[2:3]
	v_fma_f64 v[4:5], v[98:99], s[40:41], v[236:237]
	s_delay_alu instid0(VALU_DEP_1) | instskip(SKIP_1) | instid1(VALU_DEP_1)
	v_add_f64 v[0:1], v[4:5], v[0:1]
	v_fma_f64 v[4:5], v[100:101], s[4:5], -v[252:253]
	v_add_f64 v[2:3], v[4:5], v[2:3]
	v_fma_f64 v[4:5], v[102:103], s[34:35], v[234:235]
	s_delay_alu instid0(VALU_DEP_1) | instskip(SKIP_1) | instid1(VALU_DEP_1)
	v_add_f64 v[0:1], v[4:5], v[0:1]
	v_fma_f64 v[4:5], v[106:107], s[24:25], -v[218:219]
	v_add_f64 v[2:3], v[4:5], v[2:3]
	v_fma_f64 v[4:5], v[110:111], s[16:17], -v[216:217]
	s_delay_alu instid0(VALU_DEP_1) | instskip(SKIP_1) | instid1(VALU_DEP_1)
	v_add_f64 v[4:5], v[4:5], v[2:3]
	v_fma_f64 v[2:3], v[114:115], s[42:43], v[214:215]
	v_add_f64 v[0:1], v[2:3], v[0:1]
	s_delay_alu instid0(VALU_DEP_3) | instskip(NEXT) | instid1(VALU_DEP_2)
	v_mul_f64 v[2:3], v[4:5], v[6:7]
	v_mul_f64 v[6:7], v[0:1], v[6:7]
	s_delay_alu instid0(VALU_DEP_2) | instskip(NEXT) | instid1(VALU_DEP_2)
	v_fma_f64 v[2:3], v[0:1], v[8:9], v[2:3]
	v_fma_f64 v[0:1], v[4:5], v[8:9], -v[6:7]
	s_clause 0x2
	scratch_load_b64 v[4:5], off, off offset:148
	scratch_load_b64 v[6:7], off, off offset:156
	;; [unrolled: 1-line block ×3, first 2 shown]
	s_waitcnt vmcnt(2)
	v_fma_f64 v[4:5], v[53:54], s[40:41], v[4:5]
	s_waitcnt vmcnt(1)
	v_fma_f64 v[6:7], v[55:56], s[26:27], v[6:7]
	s_waitcnt vmcnt(0)
	v_fma_f64 v[8:9], v[67:68], s[22:23], -v[8:9]
	s_delay_alu instid0(VALU_DEP_3) | instskip(NEXT) | instid1(VALU_DEP_1)
	v_add_f64 v[4:5], v[19:20], v[4:5]
	v_add_f64 v[4:5], v[6:7], v[4:5]
	scratch_load_b64 v[6:7], off, off offset:188 ; 8-byte Folded Reload
	s_waitcnt vmcnt(0)
	v_fma_f64 v[6:7], v[74:75], s[44:45], v[6:7]
	s_delay_alu instid0(VALU_DEP_1) | instskip(SKIP_3) | instid1(VALU_DEP_1)
	v_add_f64 v[4:5], v[6:7], v[4:5]
	scratch_load_b64 v[6:7], off, off offset:164 ; 8-byte Folded Reload
	s_waitcnt vmcnt(0)
	v_fma_f64 v[6:7], v[65:66], s[4:5], -v[6:7]
	v_add_f64 v[6:7], v[17:18], v[6:7]
	s_delay_alu instid0(VALU_DEP_1) | instskip(SKIP_3) | instid1(VALU_DEP_1)
	v_add_f64 v[6:7], v[8:9], v[6:7]
	scratch_load_b64 v[8:9], off, off offset:196 ; 8-byte Folded Reload
	s_waitcnt vmcnt(0)
	v_fma_f64 v[8:9], v[82:83], s[34:35], v[8:9]
	v_add_f64 v[4:5], v[8:9], v[4:5]
	scratch_load_b64 v[8:9], off, off offset:180 ; 8-byte Folded Reload
	s_waitcnt vmcnt(0)
	v_fma_f64 v[8:9], v[80:81], s[8:9], -v[8:9]
	s_delay_alu instid0(VALU_DEP_1) | instskip(SKIP_3) | instid1(VALU_DEP_1)
	v_add_f64 v[6:7], v[8:9], v[6:7]
	scratch_load_b64 v[8:9], off, off offset:204 ; 8-byte Folded Reload
	s_waitcnt vmcnt(0)
	v_fma_f64 v[8:9], v[84:85], s[24:25], -v[8:9]
	v_add_f64 v[6:7], v[8:9], v[6:7]
	scratch_load_b64 v[8:9], off, off offset:220 ; 8-byte Folded Reload
	s_waitcnt vmcnt(0)
	v_fma_f64 v[8:9], v[86:87], s[46:47], v[8:9]
	s_delay_alu instid0(VALU_DEP_1) | instskip(SKIP_3) | instid1(VALU_DEP_1)
	v_add_f64 v[4:5], v[8:9], v[4:5]
	scratch_load_b64 v[8:9], off, off offset:236 ; 8-byte Folded Reload
	s_waitcnt vmcnt(0)
	v_fma_f64 v[8:9], v[92:93], s[14:15], -v[8:9]
	v_add_f64 v[6:7], v[8:9], v[6:7]
	scratch_load_b64 v[8:9], off, off offset:244 ; 8-byte Folded Reload
	s_waitcnt vmcnt(0)
	v_fma_f64 v[8:9], v[98:99], s[36:37], v[8:9]
	;; [unrolled: 9-line block ×3, first 2 shown]
	s_delay_alu instid0(VALU_DEP_1) | instskip(SKIP_3) | instid1(VALU_DEP_1)
	v_add_f64 v[4:5], v[8:9], v[4:5]
	scratch_load_b64 v[8:9], off, off offset:268 ; 8-byte Folded Reload
	s_waitcnt vmcnt(0)
	v_fma_f64 v[8:9], v[106:107], s[16:17], -v[8:9]
	v_add_f64 v[6:7], v[8:9], v[6:7]
	scratch_load_b64 v[8:9], off, off offset:276 ; 8-byte Folded Reload
	s_waitcnt vmcnt(0)
	v_fma_f64 v[8:9], v[110:111], s[18:19], -v[8:9]
	s_delay_alu instid0(VALU_DEP_1) | instskip(SKIP_3) | instid1(VALU_DEP_1)
	v_add_f64 v[8:9], v[8:9], v[6:7]
	scratch_load_b64 v[6:7], off, off offset:284 ; 8-byte Folded Reload
	s_waitcnt vmcnt(0)
	v_fma_f64 v[6:7], v[114:115], s[38:39], v[6:7]
	v_add_f64 v[4:5], v[6:7], v[4:5]
	v_mul_f64 v[6:7], v[10:11], v[8:9]
	s_delay_alu instid0(VALU_DEP_2) | instskip(NEXT) | instid1(VALU_DEP_2)
	v_mul_f64 v[10:11], v[10:11], v[4:5]
	v_fma_f64 v[6:7], v[12:13], v[4:5], v[6:7]
	s_delay_alu instid0(VALU_DEP_2)
	v_fma_f64 v[4:5], v[12:13], v[8:9], -v[10:11]
	s_clause 0x2
	scratch_load_b64 v[8:9], off, off offset:300
	scratch_load_b64 v[10:11], off, off offset:324
	;; [unrolled: 1-line block ×3, first 2 shown]
	s_waitcnt vmcnt(2)
	v_fma_f64 v[8:9], v[53:54], s[26:27], v[8:9]
	s_waitcnt vmcnt(1)
	v_fma_f64 v[10:11], v[65:66], s[22:23], -v[10:11]
	s_waitcnt vmcnt(0)
	v_fma_f64 v[12:13], v[55:56], s[34:35], v[12:13]
	s_delay_alu instid0(VALU_DEP_3) | instskip(NEXT) | instid1(VALU_DEP_3)
	v_add_f64 v[8:9], v[19:20], v[8:9]
	v_add_f64 v[10:11], v[17:18], v[10:11]
	scratch_load_b64 v[16:17], off, off offset:404 ; 8-byte Folded Reload
	v_add_f64 v[8:9], v[12:13], v[8:9]
	scratch_load_b64 v[12:13], off, off offset:316 ; 8-byte Folded Reload
	;; [unrolled: 2-line block ×3, first 2 shown]
	s_waitcnt vmcnt(2)
	v_fma_f64 v[16:17], v[102:103], s[10:11], v[16:17]
	s_waitcnt vmcnt(1)
	v_fma_f64 v[12:13], v[74:75], s[36:37], v[12:13]
	s_waitcnt vmcnt(0)
	v_fma_f64 v[14:15], v[80:81], s[20:21], -v[14:15]
	s_delay_alu instid0(VALU_DEP_2)
	v_add_f64 v[8:9], v[12:13], v[8:9]
	scratch_load_b64 v[12:13], off, off offset:340 ; 8-byte Folded Reload
	v_add_f64 v[10:11], v[14:15], v[10:11]
	scratch_load_b64 v[14:15], off, off offset:348 ; 8-byte Folded Reload
	s_waitcnt vmcnt(1)
	v_fma_f64 v[12:13], v[82:83], s[38:39], v[12:13]
	s_waitcnt vmcnt(0)
	v_fma_f64 v[14:15], v[84:85], s[18:19], -v[14:15]
	s_delay_alu instid0(VALU_DEP_2)
	v_add_f64 v[8:9], v[12:13], v[8:9]
	scratch_load_b64 v[12:13], off, off offset:356 ; 8-byte Folded Reload
	v_add_f64 v[10:11], v[14:15], v[10:11]
	scratch_load_b64 v[14:15], off, off offset:380 ; 8-byte Folded Reload
	;; [unrolled: 9-line block ×3, first 2 shown]
	s_waitcnt vmcnt(1)
	v_fma_f64 v[12:13], v[98:99], s[28:29], v[12:13]
	s_waitcnt vmcnt(0)
	v_fma_f64 v[14:15], v[100:101], s[14:15], -v[14:15]
	s_delay_alu instid0(VALU_DEP_2)
	v_add_f64 v[8:9], v[12:13], v[8:9]
	scratch_load_b64 v[12:13], off, off offset:420 ; 8-byte Folded Reload
	v_add_f64 v[10:11], v[14:15], v[10:11]
	s_clause 0x1
	scratch_load_b64 v[14:15], off, off offset:428
	scratch_load_b64 v[138:139], off, off offset:108
	v_add_f64 v[8:9], v[16:17], v[8:9]
	s_waitcnt vmcnt(2)
	v_fma_f64 v[12:13], v[106:107], s[8:9], -v[12:13]
	s_waitcnt vmcnt(1)
	v_fma_f64 v[14:15], v[114:115], s[6:7], v[14:15]
	s_delay_alu instid0(VALU_DEP_2)
	v_add_f64 v[10:11], v[12:13], v[10:11]
	scratch_load_b64 v[12:13], off, off offset:412 ; 8-byte Folded Reload
	v_add_f64 v[8:9], v[14:15], v[8:9]
	scratch_load_b64 v[14:15], off, off offset:100 ; 8-byte Folded Reload
	s_waitcnt vmcnt(1)
	v_fma_f64 v[12:13], v[110:111], s[4:5], -v[12:13]
	s_delay_alu instid0(VALU_DEP_1) | instskip(SKIP_1) | instid1(VALU_DEP_1)
	v_add_f64 v[10:11], v[12:13], v[10:11]
	s_waitcnt vmcnt(0)
	v_mul_f64 v[12:13], v[10:11], v[14:15]
	v_mul_f64 v[14:15], v[8:9], v[14:15]
	s_delay_alu instid0(VALU_DEP_2)
	v_fma_f64 v[19:20], v[8:9], v[138:139], v[12:13]
	s_clause 0x1
	scratch_load_b32 v8, off, off offset:8
	scratch_load_b32 v9, off, off offset:92
	v_fma_f64 v[17:18], v[10:11], v[138:139], -v[14:15]
	s_waitcnt vmcnt(1)
	v_mul_hi_u32 v8, 0x226b903, v8
	s_waitcnt vmcnt(0)
	s_delay_alu instid0(VALU_DEP_1) | instskip(SKIP_3) | instid1(VALU_DEP_1)
	v_mad_u32_u24 v13, 0x121, v8, v9
	scratch_load_b64 v[8:9], off, off       ; 8-byte Folded Reload
	s_waitcnt vmcnt(0)
	v_add_nc_u32_e32 v8, s13, v8
	v_mad_u64_u32 v[9:10], null, s12, v13, v[8:9]
	v_mov_b32_e32 v10, 0
	s_delay_alu instid0(VALU_DEP_1) | instskip(SKIP_1) | instid1(VALU_DEP_2)
	v_lshlrev_b64 v[11:12], 4, v[9:10]
	v_add_nc_u32_e32 v9, 17, v13
	v_add_co_u32 v11, vcc_lo, s2, v11
	s_delay_alu instid0(VALU_DEP_3) | instskip(SKIP_3) | instid1(VALU_DEP_1)
	v_add_co_ci_u32_e32 v12, vcc_lo, s3, v12, vcc_lo
	global_store_b128 v[11:12], v[59:62], off
	v_mad_u64_u32 v[11:12], null, s12, v9, v[8:9]
	v_mov_b32_e32 v12, v10
	v_lshlrev_b64 v[11:12], 4, v[11:12]
	s_delay_alu instid0(VALU_DEP_1) | instskip(NEXT) | instid1(VALU_DEP_2)
	v_add_co_u32 v11, vcc_lo, s2, v11
	v_add_co_ci_u32_e32 v12, vcc_lo, s3, v12, vcc_lo
	global_store_b128 v[11:12], v[4:7], off
	v_add_nc_u32_e32 v6, 34, v13
	s_delay_alu instid0(VALU_DEP_1) | instskip(SKIP_1) | instid1(VALU_DEP_1)
	v_mad_u64_u32 v[4:5], null, s12, v6, v[8:9]
	v_dual_mov_b32 v5, v10 :: v_dual_add_nc_u32 v6, 51, v13
	v_lshlrev_b64 v[4:5], 4, v[4:5]
	s_delay_alu instid0(VALU_DEP_1) | instskip(NEXT) | instid1(VALU_DEP_2)
	v_add_co_u32 v4, vcc_lo, s2, v4
	v_add_co_ci_u32_e32 v5, vcc_lo, s3, v5, vcc_lo
	global_store_b128 v[4:5], v[17:20], off
	v_mad_u64_u32 v[4:5], null, s12, v6, v[8:9]
	v_mov_b32_e32 v5, v10
	v_add_nc_u32_e32 v9, 0x44, v13
	s_delay_alu instid0(VALU_DEP_2) | instskip(NEXT) | instid1(VALU_DEP_2)
	v_lshlrev_b64 v[4:5], 4, v[4:5]
	v_mad_u64_u32 v[6:7], null, s12, v9, v[8:9]
	v_add_nc_u32_e32 v9, 0x55, v13
	v_mov_b32_e32 v7, v10
	s_delay_alu instid0(VALU_DEP_4) | instskip(SKIP_1) | instid1(VALU_DEP_4)
	v_add_co_u32 v4, vcc_lo, s2, v4
	v_add_co_ci_u32_e32 v5, vcc_lo, s3, v5, vcc_lo
	v_mad_u64_u32 v[11:12], null, s12, v9, v[8:9]
	v_add_nc_u32_e32 v9, 0x66, v13
	global_store_b128 v[4:5], v[0:3], off
	v_mov_b32_e32 v12, v10
	v_lshlrev_b64 v[0:1], 4, v[6:7]
	v_mad_u64_u32 v[2:3], null, s12, v9, v[8:9]
	v_add_nc_u32_e32 v9, 0x77, v13
	v_mov_b32_e32 v3, v10
	v_lshlrev_b64 v[4:5], 4, v[11:12]
	v_add_co_u32 v0, vcc_lo, s2, v0
	s_delay_alu instid0(VALU_DEP_4)
	v_mad_u64_u32 v[6:7], null, s12, v9, v[8:9]
	v_add_nc_u32_e32 v9, 0x88, v13
	v_lshlrev_b64 v[2:3], 4, v[2:3]
	v_mov_b32_e32 v7, v10
	v_add_co_ci_u32_e32 v1, vcc_lo, s3, v1, vcc_lo
	v_add_co_u32 v4, vcc_lo, s2, v4
	v_mad_u64_u32 v[11:12], null, s12, v9, v[8:9]
	v_add_co_ci_u32_e32 v5, vcc_lo, s3, v5, vcc_lo
	v_lshlrev_b64 v[6:7], 4, v[6:7]
	v_add_co_u32 v2, vcc_lo, s2, v2
	v_mov_b32_e32 v12, v10
	v_add_co_ci_u32_e32 v3, vcc_lo, s3, v3, vcc_lo
	s_clause 0x2
	global_store_b128 v[0:1], v[76:79], off
	global_store_b128 v[4:5], v[70:73], off
	;; [unrolled: 1-line block ×3, first 2 shown]
	v_lshlrev_b64 v[0:1], 4, v[11:12]
	v_add_co_u32 v2, vcc_lo, s2, v6
	v_add_nc_u32_e32 v6, 0x99, v13
	v_add_nc_u32_e32 v9, 0xaa, v13
	v_add_co_ci_u32_e32 v3, vcc_lo, s3, v7, vcc_lo
	v_add_co_u32 v0, vcc_lo, s2, v0
	s_delay_alu instid0(VALU_DEP_3)
	v_mad_u64_u32 v[4:5], null, s12, v6, v[8:9]
	v_mad_u64_u32 v[6:7], null, s12, v9, v[8:9]
	v_add_nc_u32_e32 v9, 0xbb, v13
	v_add_co_ci_u32_e32 v1, vcc_lo, s3, v1, vcc_lo
	v_mov_b32_e32 v5, v10
	v_mov_b32_e32 v7, v10
	global_store_b128 v[2:3], v[41:44], off
	v_mad_u64_u32 v[2:3], null, s12, v9, v[8:9]
	global_store_b128 v[0:1], v[37:40], off
	v_lshlrev_b64 v[0:1], 4, v[4:5]
	v_mov_b32_e32 v3, v10
	v_add_nc_u32_e32 v9, 0xcc, v13
	v_lshlrev_b64 v[4:5], 4, v[6:7]
	s_delay_alu instid0(VALU_DEP_4) | instskip(NEXT) | instid1(VALU_DEP_4)
	v_add_co_u32 v0, vcc_lo, s2, v0
	v_lshlrev_b64 v[2:3], 4, v[2:3]
	s_delay_alu instid0(VALU_DEP_4)
	v_mad_u64_u32 v[6:7], null, s12, v9, v[8:9]
	v_add_co_ci_u32_e32 v1, vcc_lo, s3, v1, vcc_lo
	v_add_co_u32 v4, vcc_lo, s2, v4
	v_mov_b32_e32 v7, v10
	v_add_co_ci_u32_e32 v5, vcc_lo, s3, v5, vcc_lo
	v_add_co_u32 v2, vcc_lo, s2, v2
	v_add_co_ci_u32_e32 v3, vcc_lo, s3, v3, vcc_lo
	s_clause 0x1
	global_store_b128 v[0:1], v[33:36], off
	global_store_b128 v[4:5], v[140:143], off
	v_add_nc_u32_e32 v4, 0xdd, v13
	v_lshlrev_b64 v[0:1], 4, v[6:7]
	v_add_nc_u32_e32 v6, 0xee, v13
	global_store_b128 v[2:3], v[248:251], off
	v_mad_u64_u32 v[2:3], null, s12, v4, v[8:9]
	v_mad_u64_u32 v[4:5], null, s12, v6, v[8:9]
	v_add_nc_u32_e32 v9, 0xff, v13
	v_add_nc_u32_e32 v13, 0x110, v13
	v_mov_b32_e32 v3, v10
	v_mov_b32_e32 v5, v10
	v_add_co_u32 v0, vcc_lo, s2, v0
	s_delay_alu instid0(VALU_DEP_4) | instskip(SKIP_4) | instid1(VALU_DEP_4)
	v_mad_u64_u32 v[11:12], null, s12, v13, v[8:9]
	v_mov_b32_e32 v12, v10
	v_mad_u64_u32 v[6:7], null, s12, v9, v[8:9]
	v_mov_b32_e32 v7, v10
	v_add_co_ci_u32_e32 v1, vcc_lo, s3, v1, vcc_lo
	v_lshlrev_b64 v[8:9], 4, v[11:12]
	scratch_load_b128 v[10:13], off, off offset:76 ; 16-byte Folded Reload
	v_lshlrev_b64 v[2:3], 4, v[2:3]
	v_lshlrev_b64 v[4:5], 4, v[4:5]
	;; [unrolled: 1-line block ×3, first 2 shown]
	s_delay_alu instid0(VALU_DEP_3) | instskip(NEXT) | instid1(VALU_DEP_4)
	v_add_co_u32 v2, vcc_lo, s2, v2
	v_add_co_ci_u32_e32 v3, vcc_lo, s3, v3, vcc_lo
	s_delay_alu instid0(VALU_DEP_4)
	v_add_co_u32 v4, vcc_lo, s2, v4
	v_add_co_ci_u32_e32 v5, vcc_lo, s3, v5, vcc_lo
	v_add_co_u32 v6, vcc_lo, s2, v6
	v_add_co_ci_u32_e32 v7, vcc_lo, s3, v7, vcc_lo
	v_add_co_u32 v8, vcc_lo, s2, v8
	v_add_co_ci_u32_e32 v9, vcc_lo, s3, v9, vcc_lo
	s_waitcnt vmcnt(0)
	global_store_b128 v[0:1], v[10:13], off
	scratch_load_b128 v[10:13], off, off offset:60 ; 16-byte Folded Reload
	s_waitcnt vmcnt(0)
	global_store_b128 v[2:3], v[10:13], off
	scratch_load_b128 v[0:3], off, off offset:44 ; 16-byte Folded Reload
	;; [unrolled: 3-line block ×4, first 2 shown]
	s_waitcnt vmcnt(0)
	global_store_b128 v[8:9], v[0:3], off
.LBB0_50:
	s_endpgm
	.section	.rodata,"a",@progbits
	.p2align	6, 0x0
	.amdhsa_kernel fft_rtc_fwd_len289_factors_17_17_wgs_119_tpt_17_dp_ip_CI_sbcc_twdbase5_3step_dirReg_intrinsicReadWrite
		.amdhsa_group_segment_fixed_size 0
		.amdhsa_private_segment_fixed_size 736
		.amdhsa_kernarg_size 96
		.amdhsa_user_sgpr_count 15
		.amdhsa_user_sgpr_dispatch_ptr 0
		.amdhsa_user_sgpr_queue_ptr 0
		.amdhsa_user_sgpr_kernarg_segment_ptr 1
		.amdhsa_user_sgpr_dispatch_id 0
		.amdhsa_user_sgpr_private_segment_size 0
		.amdhsa_wavefront_size32 1
		.amdhsa_uses_dynamic_stack 0
		.amdhsa_enable_private_segment 1
		.amdhsa_system_sgpr_workgroup_id_x 1
		.amdhsa_system_sgpr_workgroup_id_y 0
		.amdhsa_system_sgpr_workgroup_id_z 0
		.amdhsa_system_sgpr_workgroup_info 0
		.amdhsa_system_vgpr_workitem_id 0
		.amdhsa_next_free_vgpr 256
		.amdhsa_next_free_sgpr 57
		.amdhsa_reserve_vcc 1
		.amdhsa_float_round_mode_32 0
		.amdhsa_float_round_mode_16_64 0
		.amdhsa_float_denorm_mode_32 3
		.amdhsa_float_denorm_mode_16_64 3
		.amdhsa_dx10_clamp 1
		.amdhsa_ieee_mode 1
		.amdhsa_fp16_overflow 0
		.amdhsa_workgroup_processor_mode 1
		.amdhsa_memory_ordered 1
		.amdhsa_forward_progress 0
		.amdhsa_shared_vgpr_count 0
		.amdhsa_exception_fp_ieee_invalid_op 0
		.amdhsa_exception_fp_denorm_src 0
		.amdhsa_exception_fp_ieee_div_zero 0
		.amdhsa_exception_fp_ieee_overflow 0
		.amdhsa_exception_fp_ieee_underflow 0
		.amdhsa_exception_fp_ieee_inexact 0
		.amdhsa_exception_int_div_zero 0
	.end_amdhsa_kernel
	.text
.Lfunc_end0:
	.size	fft_rtc_fwd_len289_factors_17_17_wgs_119_tpt_17_dp_ip_CI_sbcc_twdbase5_3step_dirReg_intrinsicReadWrite, .Lfunc_end0-fft_rtc_fwd_len289_factors_17_17_wgs_119_tpt_17_dp_ip_CI_sbcc_twdbase5_3step_dirReg_intrinsicReadWrite
                                        ; -- End function
	.section	.AMDGPU.csdata,"",@progbits
; Kernel info:
; codeLenInByte = 23808
; NumSgprs: 59
; NumVgprs: 256
; ScratchSize: 736
; MemoryBound: 0
; FloatMode: 240
; IeeeMode: 1
; LDSByteSize: 0 bytes/workgroup (compile time only)
; SGPRBlocks: 7
; VGPRBlocks: 31
; NumSGPRsForWavesPerEU: 59
; NumVGPRsForWavesPerEU: 256
; Occupancy: 5
; WaveLimiterHint : 1
; COMPUTE_PGM_RSRC2:SCRATCH_EN: 1
; COMPUTE_PGM_RSRC2:USER_SGPR: 15
; COMPUTE_PGM_RSRC2:TRAP_HANDLER: 0
; COMPUTE_PGM_RSRC2:TGID_X_EN: 1
; COMPUTE_PGM_RSRC2:TGID_Y_EN: 0
; COMPUTE_PGM_RSRC2:TGID_Z_EN: 0
; COMPUTE_PGM_RSRC2:TIDIG_COMP_CNT: 0
	.text
	.p2alignl 7, 3214868480
	.fill 96, 4, 3214868480
	.type	__hip_cuid_661f9c2afcf90f07,@object ; @__hip_cuid_661f9c2afcf90f07
	.section	.bss,"aw",@nobits
	.globl	__hip_cuid_661f9c2afcf90f07
__hip_cuid_661f9c2afcf90f07:
	.byte	0                               ; 0x0
	.size	__hip_cuid_661f9c2afcf90f07, 1

	.ident	"AMD clang version 19.0.0git (https://github.com/RadeonOpenCompute/llvm-project roc-6.4.0 25133 c7fe45cf4b819c5991fe208aaa96edf142730f1d)"
	.section	".note.GNU-stack","",@progbits
	.addrsig
	.addrsig_sym __hip_cuid_661f9c2afcf90f07
	.amdgpu_metadata
---
amdhsa.kernels:
  - .args:
      - .actual_access:  read_only
        .address_space:  global
        .offset:         0
        .size:           8
        .value_kind:     global_buffer
      - .address_space:  global
        .offset:         8
        .size:           8
        .value_kind:     global_buffer
      - .offset:         16
        .size:           8
        .value_kind:     by_value
      - .actual_access:  read_only
        .address_space:  global
        .offset:         24
        .size:           8
        .value_kind:     global_buffer
      - .actual_access:  read_only
        .address_space:  global
        .offset:         32
        .size:           8
        .value_kind:     global_buffer
      - .offset:         40
        .size:           8
        .value_kind:     by_value
      - .actual_access:  read_only
        .address_space:  global
        .offset:         48
        .size:           8
        .value_kind:     global_buffer
      - .actual_access:  read_only
        .address_space:  global
        .offset:         56
        .size:           8
        .value_kind:     global_buffer
      - .offset:         64
        .size:           4
        .value_kind:     by_value
      - .actual_access:  read_only
        .address_space:  global
        .offset:         72
        .size:           8
        .value_kind:     global_buffer
      - .actual_access:  read_only
        .address_space:  global
        .offset:         80
        .size:           8
        .value_kind:     global_buffer
      - .address_space:  global
        .offset:         88
        .size:           8
        .value_kind:     global_buffer
    .group_segment_fixed_size: 0
    .kernarg_segment_align: 8
    .kernarg_segment_size: 96
    .language:       OpenCL C
    .language_version:
      - 2
      - 0
    .max_flat_workgroup_size: 119
    .name:           fft_rtc_fwd_len289_factors_17_17_wgs_119_tpt_17_dp_ip_CI_sbcc_twdbase5_3step_dirReg_intrinsicReadWrite
    .private_segment_fixed_size: 736
    .sgpr_count:     59
    .sgpr_spill_count: 0
    .symbol:         fft_rtc_fwd_len289_factors_17_17_wgs_119_tpt_17_dp_ip_CI_sbcc_twdbase5_3step_dirReg_intrinsicReadWrite.kd
    .uniform_work_group_size: 1
    .uses_dynamic_stack: false
    .vgpr_count:     256
    .vgpr_spill_count: 226
    .wavefront_size: 32
    .workgroup_processor_mode: 1
amdhsa.target:   amdgcn-amd-amdhsa--gfx1100
amdhsa.version:
  - 1
  - 2
...

	.end_amdgpu_metadata
